;; amdgpu-corpus repo=ROCm/rocFFT kind=compiled arch=gfx1201 opt=O3
	.text
	.amdgcn_target "amdgcn-amd-amdhsa--gfx1201"
	.amdhsa_code_object_version 6
	.protected	fft_rtc_back_len1404_factors_2_2_3_13_3_3_wgs_117_tpt_117_halfLds_dp_op_CI_CI_unitstride_sbrr_C2R_dirReg ; -- Begin function fft_rtc_back_len1404_factors_2_2_3_13_3_3_wgs_117_tpt_117_halfLds_dp_op_CI_CI_unitstride_sbrr_C2R_dirReg
	.globl	fft_rtc_back_len1404_factors_2_2_3_13_3_3_wgs_117_tpt_117_halfLds_dp_op_CI_CI_unitstride_sbrr_C2R_dirReg
	.p2align	8
	.type	fft_rtc_back_len1404_factors_2_2_3_13_3_3_wgs_117_tpt_117_halfLds_dp_op_CI_CI_unitstride_sbrr_C2R_dirReg,@function
fft_rtc_back_len1404_factors_2_2_3_13_3_3_wgs_117_tpt_117_halfLds_dp_op_CI_CI_unitstride_sbrr_C2R_dirReg: ; @fft_rtc_back_len1404_factors_2_2_3_13_3_3_wgs_117_tpt_117_halfLds_dp_op_CI_CI_unitstride_sbrr_C2R_dirReg
; %bb.0:
	s_clause 0x2
	s_load_b128 s[8:11], s[0:1], 0x0
	s_load_b128 s[4:7], s[0:1], 0x58
	;; [unrolled: 1-line block ×3, first 2 shown]
	v_mul_u32_u24_e32 v1, 0x231, v0
	v_mov_b32_e32 v3, 0
	s_delay_alu instid0(VALU_DEP_2) | instskip(NEXT) | instid1(VALU_DEP_1)
	v_lshrrev_b32_e32 v1, 16, v1
	v_add_nc_u32_e32 v5, ttmp9, v1
	v_mov_b32_e32 v1, 0
	v_mov_b32_e32 v2, 0
	;; [unrolled: 1-line block ×3, first 2 shown]
	s_wait_kmcnt 0x0
	v_cmp_lt_u64_e64 s2, s[10:11], 2
	s_delay_alu instid0(VALU_DEP_1)
	s_and_b32 vcc_lo, exec_lo, s2
	s_cbranch_vccnz .LBB0_8
; %bb.1:
	s_load_b64 s[2:3], s[0:1], 0x10
	v_mov_b32_e32 v1, 0
	v_mov_b32_e32 v2, 0
	s_add_nc_u64 s[16:17], s[14:15], 8
	s_add_nc_u64 s[18:19], s[12:13], 8
	s_mov_b64 s[20:21], 1
	s_delay_alu instid0(VALU_DEP_1)
	v_dual_mov_b32 v53, v2 :: v_dual_mov_b32 v52, v1
	s_wait_kmcnt 0x0
	s_add_nc_u64 s[22:23], s[2:3], 8
	s_mov_b32 s3, 0
.LBB0_2:                                ; =>This Inner Loop Header: Depth=1
	s_load_b64 s[24:25], s[22:23], 0x0
                                        ; implicit-def: $vgpr56_vgpr57
	s_mov_b32 s2, exec_lo
	s_wait_kmcnt 0x0
	v_or_b32_e32 v4, s25, v6
	s_delay_alu instid0(VALU_DEP_1)
	v_cmpx_ne_u64_e32 0, v[3:4]
	s_wait_alu 0xfffe
	s_xor_b32 s26, exec_lo, s2
	s_cbranch_execz .LBB0_4
; %bb.3:                                ;   in Loop: Header=BB0_2 Depth=1
	s_cvt_f32_u32 s2, s24
	s_cvt_f32_u32 s27, s25
	s_sub_nc_u64 s[30:31], 0, s[24:25]
	s_wait_alu 0xfffe
	s_delay_alu instid0(SALU_CYCLE_1) | instskip(SKIP_1) | instid1(SALU_CYCLE_2)
	s_fmamk_f32 s2, s27, 0x4f800000, s2
	s_wait_alu 0xfffe
	v_s_rcp_f32 s2, s2
	s_delay_alu instid0(TRANS32_DEP_1) | instskip(SKIP_1) | instid1(SALU_CYCLE_2)
	s_mul_f32 s2, s2, 0x5f7ffffc
	s_wait_alu 0xfffe
	s_mul_f32 s27, s2, 0x2f800000
	s_wait_alu 0xfffe
	s_delay_alu instid0(SALU_CYCLE_2) | instskip(SKIP_1) | instid1(SALU_CYCLE_2)
	s_trunc_f32 s27, s27
	s_wait_alu 0xfffe
	s_fmamk_f32 s2, s27, 0xcf800000, s2
	s_cvt_u32_f32 s29, s27
	s_wait_alu 0xfffe
	s_delay_alu instid0(SALU_CYCLE_1) | instskip(SKIP_1) | instid1(SALU_CYCLE_2)
	s_cvt_u32_f32 s28, s2
	s_wait_alu 0xfffe
	s_mul_u64 s[34:35], s[30:31], s[28:29]
	s_wait_alu 0xfffe
	s_mul_hi_u32 s37, s28, s35
	s_mul_i32 s36, s28, s35
	s_mul_hi_u32 s2, s28, s34
	s_mul_i32 s33, s29, s34
	s_wait_alu 0xfffe
	s_add_nc_u64 s[36:37], s[2:3], s[36:37]
	s_mul_hi_u32 s27, s29, s34
	s_mul_hi_u32 s38, s29, s35
	s_add_co_u32 s2, s36, s33
	s_wait_alu 0xfffe
	s_add_co_ci_u32 s2, s37, s27
	s_mul_i32 s34, s29, s35
	s_add_co_ci_u32 s35, s38, 0
	s_wait_alu 0xfffe
	s_add_nc_u64 s[34:35], s[2:3], s[34:35]
	s_wait_alu 0xfffe
	v_add_co_u32 v4, s2, s28, s34
	s_delay_alu instid0(VALU_DEP_1) | instskip(SKIP_1) | instid1(VALU_DEP_1)
	s_cmp_lg_u32 s2, 0
	s_add_co_ci_u32 s29, s29, s35
	v_readfirstlane_b32 s28, v4
	s_wait_alu 0xfffe
	s_delay_alu instid0(VALU_DEP_1)
	s_mul_u64 s[30:31], s[30:31], s[28:29]
	s_wait_alu 0xfffe
	s_mul_hi_u32 s35, s28, s31
	s_mul_i32 s34, s28, s31
	s_mul_hi_u32 s2, s28, s30
	s_mul_i32 s33, s29, s30
	s_wait_alu 0xfffe
	s_add_nc_u64 s[34:35], s[2:3], s[34:35]
	s_mul_hi_u32 s27, s29, s30
	s_mul_hi_u32 s28, s29, s31
	s_wait_alu 0xfffe
	s_add_co_u32 s2, s34, s33
	s_add_co_ci_u32 s2, s35, s27
	s_mul_i32 s30, s29, s31
	s_add_co_ci_u32 s31, s28, 0
	s_wait_alu 0xfffe
	s_add_nc_u64 s[30:31], s[2:3], s[30:31]
	s_wait_alu 0xfffe
	v_add_co_u32 v4, s2, v4, s30
	s_delay_alu instid0(VALU_DEP_1) | instskip(SKIP_1) | instid1(VALU_DEP_1)
	s_cmp_lg_u32 s2, 0
	s_add_co_ci_u32 s2, s29, s31
	v_mul_hi_u32 v13, v5, v4
	s_wait_alu 0xfffe
	v_mad_co_u64_u32 v[7:8], null, v5, s2, 0
	v_mad_co_u64_u32 v[9:10], null, v6, v4, 0
	;; [unrolled: 1-line block ×3, first 2 shown]
	s_delay_alu instid0(VALU_DEP_3) | instskip(SKIP_1) | instid1(VALU_DEP_4)
	v_add_co_u32 v4, vcc_lo, v13, v7
	s_wait_alu 0xfffd
	v_add_co_ci_u32_e32 v7, vcc_lo, 0, v8, vcc_lo
	s_delay_alu instid0(VALU_DEP_2) | instskip(SKIP_1) | instid1(VALU_DEP_2)
	v_add_co_u32 v4, vcc_lo, v4, v9
	s_wait_alu 0xfffd
	v_add_co_ci_u32_e32 v4, vcc_lo, v7, v10, vcc_lo
	s_wait_alu 0xfffd
	v_add_co_ci_u32_e32 v7, vcc_lo, 0, v12, vcc_lo
	s_delay_alu instid0(VALU_DEP_2) | instskip(SKIP_1) | instid1(VALU_DEP_2)
	v_add_co_u32 v4, vcc_lo, v4, v11
	s_wait_alu 0xfffd
	v_add_co_ci_u32_e32 v9, vcc_lo, 0, v7, vcc_lo
	s_delay_alu instid0(VALU_DEP_2) | instskip(SKIP_1) | instid1(VALU_DEP_3)
	v_mul_lo_u32 v10, s25, v4
	v_mad_co_u64_u32 v[7:8], null, s24, v4, 0
	v_mul_lo_u32 v11, s24, v9
	s_delay_alu instid0(VALU_DEP_2) | instskip(NEXT) | instid1(VALU_DEP_2)
	v_sub_co_u32 v7, vcc_lo, v5, v7
	v_add3_u32 v8, v8, v11, v10
	s_delay_alu instid0(VALU_DEP_1) | instskip(SKIP_1) | instid1(VALU_DEP_1)
	v_sub_nc_u32_e32 v10, v6, v8
	s_wait_alu 0xfffd
	v_subrev_co_ci_u32_e64 v10, s2, s25, v10, vcc_lo
	v_add_co_u32 v11, s2, v4, 2
	s_wait_alu 0xf1ff
	v_add_co_ci_u32_e64 v12, s2, 0, v9, s2
	v_sub_co_u32 v13, s2, v7, s24
	v_sub_co_ci_u32_e32 v8, vcc_lo, v6, v8, vcc_lo
	s_wait_alu 0xf1ff
	v_subrev_co_ci_u32_e64 v10, s2, 0, v10, s2
	s_delay_alu instid0(VALU_DEP_3) | instskip(NEXT) | instid1(VALU_DEP_3)
	v_cmp_le_u32_e32 vcc_lo, s24, v13
	v_cmp_eq_u32_e64 s2, s25, v8
	s_wait_alu 0xfffd
	v_cndmask_b32_e64 v13, 0, -1, vcc_lo
	v_cmp_le_u32_e32 vcc_lo, s25, v10
	s_wait_alu 0xfffd
	v_cndmask_b32_e64 v14, 0, -1, vcc_lo
	v_cmp_le_u32_e32 vcc_lo, s24, v7
	;; [unrolled: 3-line block ×3, first 2 shown]
	s_wait_alu 0xfffd
	v_cndmask_b32_e64 v15, 0, -1, vcc_lo
	v_cmp_eq_u32_e32 vcc_lo, s25, v10
	s_wait_alu 0xf1ff
	s_delay_alu instid0(VALU_DEP_2)
	v_cndmask_b32_e64 v7, v15, v7, s2
	s_wait_alu 0xfffd
	v_cndmask_b32_e32 v10, v14, v13, vcc_lo
	v_add_co_u32 v13, vcc_lo, v4, 1
	s_wait_alu 0xfffd
	v_add_co_ci_u32_e32 v14, vcc_lo, 0, v9, vcc_lo
	s_delay_alu instid0(VALU_DEP_3) | instskip(SKIP_1) | instid1(VALU_DEP_2)
	v_cmp_ne_u32_e32 vcc_lo, 0, v10
	s_wait_alu 0xfffd
	v_cndmask_b32_e32 v8, v14, v12, vcc_lo
	v_cndmask_b32_e32 v10, v13, v11, vcc_lo
	v_cmp_ne_u32_e32 vcc_lo, 0, v7
	s_wait_alu 0xfffd
	s_delay_alu instid0(VALU_DEP_2)
	v_dual_cndmask_b32 v57, v9, v8 :: v_dual_cndmask_b32 v56, v4, v10
.LBB0_4:                                ;   in Loop: Header=BB0_2 Depth=1
	s_wait_alu 0xfffe
	s_and_not1_saveexec_b32 s2, s26
	s_cbranch_execz .LBB0_6
; %bb.5:                                ;   in Loop: Header=BB0_2 Depth=1
	v_cvt_f32_u32_e32 v4, s24
	s_sub_co_i32 s26, 0, s24
	v_mov_b32_e32 v57, v3
	s_delay_alu instid0(VALU_DEP_2) | instskip(NEXT) | instid1(TRANS32_DEP_1)
	v_rcp_iflag_f32_e32 v4, v4
	v_mul_f32_e32 v4, 0x4f7ffffe, v4
	s_delay_alu instid0(VALU_DEP_1) | instskip(SKIP_1) | instid1(VALU_DEP_1)
	v_cvt_u32_f32_e32 v4, v4
	s_wait_alu 0xfffe
	v_mul_lo_u32 v7, s26, v4
	s_delay_alu instid0(VALU_DEP_1) | instskip(NEXT) | instid1(VALU_DEP_1)
	v_mul_hi_u32 v7, v4, v7
	v_add_nc_u32_e32 v4, v4, v7
	s_delay_alu instid0(VALU_DEP_1) | instskip(NEXT) | instid1(VALU_DEP_1)
	v_mul_hi_u32 v4, v5, v4
	v_mul_lo_u32 v7, v4, s24
	v_add_nc_u32_e32 v8, 1, v4
	s_delay_alu instid0(VALU_DEP_2) | instskip(NEXT) | instid1(VALU_DEP_1)
	v_sub_nc_u32_e32 v7, v5, v7
	v_subrev_nc_u32_e32 v9, s24, v7
	v_cmp_le_u32_e32 vcc_lo, s24, v7
	s_wait_alu 0xfffd
	s_delay_alu instid0(VALU_DEP_2) | instskip(NEXT) | instid1(VALU_DEP_1)
	v_dual_cndmask_b32 v7, v7, v9 :: v_dual_cndmask_b32 v4, v4, v8
	v_cmp_le_u32_e32 vcc_lo, s24, v7
	s_delay_alu instid0(VALU_DEP_2) | instskip(SKIP_1) | instid1(VALU_DEP_1)
	v_add_nc_u32_e32 v8, 1, v4
	s_wait_alu 0xfffd
	v_cndmask_b32_e32 v56, v4, v8, vcc_lo
.LBB0_6:                                ;   in Loop: Header=BB0_2 Depth=1
	s_wait_alu 0xfffe
	s_or_b32 exec_lo, exec_lo, s2
	v_mul_lo_u32 v4, v57, s24
	s_delay_alu instid0(VALU_DEP_2)
	v_mul_lo_u32 v9, v56, s25
	s_load_b64 s[26:27], s[18:19], 0x0
	v_mad_co_u64_u32 v[7:8], null, v56, s24, 0
	s_load_b64 s[24:25], s[16:17], 0x0
	s_add_nc_u64 s[20:21], s[20:21], 1
	s_add_nc_u64 s[16:17], s[16:17], 8
	s_wait_alu 0xfffe
	v_cmp_ge_u64_e64 s2, s[20:21], s[10:11]
	s_add_nc_u64 s[18:19], s[18:19], 8
	s_add_nc_u64 s[22:23], s[22:23], 8
	v_add3_u32 v4, v8, v9, v4
	v_sub_co_u32 v5, vcc_lo, v5, v7
	s_wait_alu 0xfffd
	s_delay_alu instid0(VALU_DEP_2) | instskip(SKIP_2) | instid1(VALU_DEP_1)
	v_sub_co_ci_u32_e32 v4, vcc_lo, v6, v4, vcc_lo
	s_and_b32 vcc_lo, exec_lo, s2
	s_wait_kmcnt 0x0
	v_mul_lo_u32 v6, s26, v4
	v_mul_lo_u32 v7, s27, v5
	v_mad_co_u64_u32 v[1:2], null, s26, v5, v[1:2]
	v_mul_lo_u32 v4, s24, v4
	v_mul_lo_u32 v8, s25, v5
	v_mad_co_u64_u32 v[52:53], null, s24, v5, v[52:53]
	s_delay_alu instid0(VALU_DEP_4) | instskip(NEXT) | instid1(VALU_DEP_2)
	v_add3_u32 v2, v7, v2, v6
	v_add3_u32 v53, v8, v53, v4
	s_wait_alu 0xfffe
	s_cbranch_vccnz .LBB0_9
; %bb.7:                                ;   in Loop: Header=BB0_2 Depth=1
	v_dual_mov_b32 v5, v56 :: v_dual_mov_b32 v6, v57
	s_branch .LBB0_2
.LBB0_8:
	v_dual_mov_b32 v53, v2 :: v_dual_mov_b32 v52, v1
	v_dual_mov_b32 v57, v6 :: v_dual_mov_b32 v56, v5
.LBB0_9:
	s_load_b64 s[0:1], s[0:1], 0x28
	v_mul_hi_u32 v3, 0x2302303, v0
	s_lshl_b64 s[10:11], s[10:11], 3
                                        ; implicit-def: $vgpr54
	s_wait_alu 0xfffe
	s_add_nc_u64 s[2:3], s[14:15], s[10:11]
	s_wait_kmcnt 0x0
	v_cmp_gt_u64_e32 vcc_lo, s[0:1], v[56:57]
	v_cmp_le_u64_e64 s0, s[0:1], v[56:57]
	s_delay_alu instid0(VALU_DEP_1)
	s_and_saveexec_b32 s1, s0
	s_wait_alu 0xfffe
	s_xor_b32 s0, exec_lo, s1
; %bb.10:
	v_mul_u32_u24_e32 v1, 0x75, v3
                                        ; implicit-def: $vgpr3
	s_delay_alu instid0(VALU_DEP_1)
	v_sub_nc_u32_e32 v54, v0, v1
                                        ; implicit-def: $vgpr0
                                        ; implicit-def: $vgpr1_vgpr2
; %bb.11:
	s_wait_alu 0xfffe
	s_or_saveexec_b32 s1, s0
	s_load_b64 s[2:3], s[2:3], 0x0
	s_xor_b32 exec_lo, exec_lo, s1
	s_cbranch_execz .LBB0_15
; %bb.12:
	s_add_nc_u64 s[10:11], s[12:13], s[10:11]
	v_lshlrev_b64_e32 v[1:2], 4, v[1:2]
	s_load_b64 s[10:11], s[10:11], 0x0
	s_wait_kmcnt 0x0
	v_mul_lo_u32 v6, s11, v56
	v_mul_lo_u32 v7, s10, v57
	v_mad_co_u64_u32 v[4:5], null, s10, v56, 0
	s_delay_alu instid0(VALU_DEP_1) | instskip(SKIP_1) | instid1(VALU_DEP_2)
	v_add3_u32 v5, v5, v7, v6
	v_mul_u32_u24_e32 v6, 0x75, v3
	v_lshlrev_b64_e32 v[3:4], 4, v[4:5]
	s_delay_alu instid0(VALU_DEP_2) | instskip(NEXT) | instid1(VALU_DEP_1)
	v_sub_nc_u32_e32 v54, v0, v6
	v_lshlrev_b32_e32 v50, 4, v54
	s_delay_alu instid0(VALU_DEP_3) | instskip(SKIP_1) | instid1(VALU_DEP_4)
	v_add_co_u32 v0, s0, s4, v3
	s_wait_alu 0xf1ff
	v_add_co_ci_u32_e64 v3, s0, s5, v4, s0
	s_mov_b32 s4, exec_lo
	s_delay_alu instid0(VALU_DEP_2) | instskip(SKIP_1) | instid1(VALU_DEP_2)
	v_add_co_u32 v0, s0, v0, v1
	s_wait_alu 0xf1ff
	v_add_co_ci_u32_e64 v1, s0, v3, v2, s0
	s_delay_alu instid0(VALU_DEP_2) | instskip(SKIP_1) | instid1(VALU_DEP_2)
	v_add_co_u32 v46, s0, v0, v50
	s_wait_alu 0xf1ff
	v_add_co_ci_u32_e64 v47, s0, 0, v1, s0
	s_clause 0xb
	global_load_b128 v[2:5], v[46:47], off
	global_load_b128 v[6:9], v[46:47], off offset:1872
	global_load_b128 v[10:13], v[46:47], off offset:3744
	global_load_b128 v[14:17], v[46:47], off offset:5616
	global_load_b128 v[18:21], v[46:47], off offset:7488
	global_load_b128 v[22:25], v[46:47], off offset:9360
	global_load_b128 v[26:29], v[46:47], off offset:11232
	global_load_b128 v[30:33], v[46:47], off offset:13104
	global_load_b128 v[34:37], v[46:47], off offset:14976
	global_load_b128 v[38:41], v[46:47], off offset:16848
	global_load_b128 v[42:45], v[46:47], off offset:18720
	global_load_b128 v[46:49], v[46:47], off offset:20592
	v_add_nc_u32_e32 v50, 0, v50
	s_wait_loadcnt 0xb
	ds_store_b128 v50, v[2:5]
	s_wait_loadcnt 0xa
	ds_store_b128 v50, v[6:9] offset:1872
	s_wait_loadcnt 0x9
	ds_store_b128 v50, v[10:13] offset:3744
	;; [unrolled: 2-line block ×11, first 2 shown]
	v_cmpx_eq_u32_e32 0x74, v54
	s_cbranch_execz .LBB0_14
; %bb.13:
	global_load_b128 v[0:3], v[0:1], off offset:22464
	v_mov_b32_e32 v4, 0
	v_mov_b32_e32 v54, 0x74
	s_wait_loadcnt 0x0
	ds_store_b128 v4, v[0:3] offset:22464
.LBB0_14:
	s_wait_alu 0xfffe
	s_or_b32 exec_lo, exec_lo, s4
.LBB0_15:
	s_delay_alu instid0(SALU_CYCLE_1)
	s_or_b32 exec_lo, exec_lo, s1
	v_lshlrev_b32_e32 v0, 4, v54
	global_wb scope:SCOPE_SE
	s_wait_dscnt 0x0
	s_wait_kmcnt 0x0
	s_barrier_signal -1
	s_barrier_wait -1
	global_inv scope:SCOPE_SE
	v_add_nc_u32_e32 v121, 0, v0
	v_sub_nc_u32_e32 v10, 0, v0
	s_mov_b32 s1, exec_lo
                                        ; implicit-def: $vgpr4_vgpr5
	ds_load_b64 v[6:7], v121
	ds_load_b64 v[8:9], v10 offset:22464
	s_wait_dscnt 0x0
	v_add_f64_e32 v[0:1], v[6:7], v[8:9]
	v_add_f64_e64 v[2:3], v[6:7], -v[8:9]
	v_cmpx_ne_u32_e32 0, v54
	s_wait_alu 0xfffe
	s_xor_b32 s1, exec_lo, s1
	s_cbranch_execz .LBB0_17
; %bb.16:
	v_mov_b32_e32 v55, 0
	v_add_f64_e32 v[13:14], v[6:7], v[8:9]
	v_add_f64_e64 v[15:16], v[6:7], -v[8:9]
	s_delay_alu instid0(VALU_DEP_3) | instskip(NEXT) | instid1(VALU_DEP_1)
	v_lshlrev_b64_e32 v[0:1], 4, v[54:55]
	v_add_co_u32 v0, s0, s8, v0
	s_wait_alu 0xf1ff
	s_delay_alu instid0(VALU_DEP_2)
	v_add_co_ci_u32_e64 v1, s0, s9, v1, s0
	global_load_b128 v[2:5], v[0:1], off offset:22432
	ds_load_b64 v[0:1], v10 offset:22472
	ds_load_b64 v[11:12], v121 offset:8
	s_wait_dscnt 0x0
	v_add_f64_e32 v[6:7], v[0:1], v[11:12]
	v_add_f64_e64 v[0:1], v[11:12], -v[0:1]
	s_wait_loadcnt 0x0
	v_fma_f64 v[8:9], v[15:16], v[4:5], v[13:14]
	v_fma_f64 v[11:12], -v[15:16], v[4:5], v[13:14]
	s_delay_alu instid0(VALU_DEP_3) | instskip(SKIP_1) | instid1(VALU_DEP_4)
	v_fma_f64 v[13:14], v[6:7], v[4:5], -v[0:1]
	v_fma_f64 v[4:5], v[6:7], v[4:5], v[0:1]
	v_fma_f64 v[0:1], -v[6:7], v[2:3], v[8:9]
	s_delay_alu instid0(VALU_DEP_4) | instskip(NEXT) | instid1(VALU_DEP_4)
	v_fma_f64 v[6:7], v[6:7], v[2:3], v[11:12]
	v_fma_f64 v[8:9], v[15:16], v[2:3], v[13:14]
	s_delay_alu instid0(VALU_DEP_4)
	v_fma_f64 v[2:3], v[15:16], v[2:3], v[4:5]
	v_dual_mov_b32 v4, v54 :: v_dual_mov_b32 v5, v55
	ds_store_b128 v10, v[6:9] offset:22464
.LBB0_17:
	s_wait_alu 0xfffe
	s_and_not1_saveexec_b32 s0, s1
	s_cbranch_execz .LBB0_19
; %bb.18:
	v_mov_b32_e32 v8, 0
	ds_load_b128 v[4:7], v8 offset:11232
	s_wait_dscnt 0x0
	v_add_f64_e32 v[11:12], v[4:5], v[4:5]
	v_mul_f64_e32 v[13:14], -2.0, v[6:7]
	v_mov_b32_e32 v4, 0
	v_mov_b32_e32 v5, 0
	ds_store_b128 v8, v[11:14] offset:11232
.LBB0_19:
	s_wait_alu 0xfffe
	s_or_b32 exec_lo, exec_lo, s0
	v_lshlrev_b64_e32 v[4:5], 4, v[4:5]
	s_add_nc_u64 s[0:1], s[8:9], 0x57a0
	v_add_nc_u32_e32 v55, 0x15f, v54
	v_and_b32_e32 v74, 1, v54
	v_add_nc_u32_e32 v63, 0x75, v54
	v_add_nc_u32_e32 v61, 0xea, v54
	s_wait_alu 0xfffe
	v_add_co_u32 v23, s0, s0, v4
	s_wait_alu 0xf1ff
	v_add_co_ci_u32_e64 v24, s0, s1, v5, s0
	v_lshlrev_b32_e32 v64, 4, v74
	v_and_b32_e32 v76, 1, v55
	v_lshl_add_u32 v58, v61, 5, 0
	s_clause 0x1
	global_load_b128 v[4:7], v[23:24], off offset:1872
	global_load_b128 v[11:14], v[23:24], off offset:3744
	ds_store_b128 v121, v[0:3]
	ds_load_b128 v[0:3], v121 offset:1872
	ds_load_b128 v[15:18], v10 offset:20592
	global_load_b128 v[19:22], v[23:24], off offset:5616
	v_lshl_add_u32 v59, v55, 5, 0
	v_and_b32_e32 v77, 1, v63
	v_and_b32_e32 v105, 3, v63
	;; [unrolled: 1-line block ×4, first 2 shown]
	s_mov_b32 s0, 0xe8584caa
	s_mov_b32 s1, 0xbfebb67a
	;; [unrolled: 1-line block ×3, first 2 shown]
	s_wait_alu 0xfffe
	s_mov_b32 s4, s0
	s_wait_dscnt 0x0
	v_add_f64_e32 v[8:9], v[0:1], v[15:16]
	v_add_f64_e32 v[25:26], v[17:18], v[2:3]
	v_add_f64_e64 v[15:16], v[0:1], -v[15:16]
	v_add_f64_e64 v[0:1], v[2:3], -v[17:18]
	s_wait_loadcnt 0x2
	s_delay_alu instid0(VALU_DEP_2) | instskip(NEXT) | instid1(VALU_DEP_2)
	v_fma_f64 v[2:3], v[15:16], v[6:7], v[8:9]
	v_fma_f64 v[17:18], v[25:26], v[6:7], v[0:1]
	v_fma_f64 v[8:9], -v[15:16], v[6:7], v[8:9]
	v_fma_f64 v[27:28], v[25:26], v[6:7], -v[0:1]
	s_delay_alu instid0(VALU_DEP_4) | instskip(NEXT) | instid1(VALU_DEP_4)
	v_fma_f64 v[0:1], -v[25:26], v[4:5], v[2:3]
	v_fma_f64 v[2:3], v[15:16], v[4:5], v[17:18]
	s_delay_alu instid0(VALU_DEP_4) | instskip(NEXT) | instid1(VALU_DEP_4)
	v_fma_f64 v[6:7], v[25:26], v[4:5], v[8:9]
	v_fma_f64 v[8:9], v[15:16], v[4:5], v[27:28]
	ds_store_b128 v121, v[0:3] offset:1872
	ds_store_b128 v10, v[6:9] offset:20592
	ds_load_b128 v[0:3], v121 offset:3744
	ds_load_b128 v[4:7], v10 offset:18720
	global_load_b128 v[15:18], v[23:24], off offset:7488
	s_wait_dscnt 0x0
	v_add_f64_e32 v[8:9], v[0:1], v[4:5]
	v_add_f64_e32 v[25:26], v[6:7], v[2:3]
	v_add_f64_e64 v[27:28], v[0:1], -v[4:5]
	v_add_f64_e64 v[0:1], v[2:3], -v[6:7]
	s_wait_loadcnt 0x2
	s_delay_alu instid0(VALU_DEP_2) | instskip(NEXT) | instid1(VALU_DEP_2)
	v_fma_f64 v[2:3], v[27:28], v[13:14], v[8:9]
	v_fma_f64 v[4:5], v[25:26], v[13:14], v[0:1]
	v_fma_f64 v[6:7], -v[27:28], v[13:14], v[8:9]
	v_fma_f64 v[8:9], v[25:26], v[13:14], -v[0:1]
	s_delay_alu instid0(VALU_DEP_4) | instskip(NEXT) | instid1(VALU_DEP_4)
	v_fma_f64 v[0:1], -v[25:26], v[11:12], v[2:3]
	v_fma_f64 v[2:3], v[27:28], v[11:12], v[4:5]
	s_delay_alu instid0(VALU_DEP_4) | instskip(NEXT) | instid1(VALU_DEP_4)
	v_fma_f64 v[4:5], v[25:26], v[11:12], v[6:7]
	v_fma_f64 v[6:7], v[27:28], v[11:12], v[8:9]
	ds_store_b128 v121, v[0:3] offset:3744
	ds_store_b128 v10, v[4:7] offset:18720
	ds_load_b128 v[0:3], v121 offset:5616
	ds_load_b128 v[4:7], v10 offset:16848
	global_load_b128 v[11:14], v[23:24], off offset:9360
	s_wait_dscnt 0x0
	v_add_f64_e32 v[8:9], v[0:1], v[4:5]
	v_add_f64_e32 v[23:24], v[6:7], v[2:3]
	v_add_f64_e64 v[25:26], v[0:1], -v[4:5]
	v_add_f64_e64 v[0:1], v[2:3], -v[6:7]
	s_wait_loadcnt 0x2
	s_delay_alu instid0(VALU_DEP_2) | instskip(NEXT) | instid1(VALU_DEP_2)
	v_fma_f64 v[2:3], v[25:26], v[21:22], v[8:9]
	v_fma_f64 v[4:5], v[23:24], v[21:22], v[0:1]
	v_fma_f64 v[6:7], -v[25:26], v[21:22], v[8:9]
	v_fma_f64 v[8:9], v[23:24], v[21:22], -v[0:1]
	s_delay_alu instid0(VALU_DEP_4) | instskip(NEXT) | instid1(VALU_DEP_4)
	v_fma_f64 v[0:1], -v[23:24], v[19:20], v[2:3]
	v_fma_f64 v[2:3], v[25:26], v[19:20], v[4:5]
	s_delay_alu instid0(VALU_DEP_4) | instskip(NEXT) | instid1(VALU_DEP_4)
	v_fma_f64 v[4:5], v[23:24], v[19:20], v[6:7]
	v_fma_f64 v[6:7], v[25:26], v[19:20], v[8:9]
	ds_store_b128 v121, v[0:3] offset:5616
	ds_store_b128 v10, v[4:7] offset:16848
	ds_load_b128 v[0:3], v121 offset:7488
	ds_load_b128 v[4:7], v10 offset:14976
	s_wait_dscnt 0x0
	v_add_f64_e32 v[8:9], v[0:1], v[4:5]
	v_add_f64_e32 v[19:20], v[6:7], v[2:3]
	v_add_f64_e64 v[21:22], v[0:1], -v[4:5]
	v_add_f64_e64 v[0:1], v[2:3], -v[6:7]
	s_wait_loadcnt 0x1
	s_delay_alu instid0(VALU_DEP_2) | instskip(NEXT) | instid1(VALU_DEP_2)
	v_fma_f64 v[2:3], v[21:22], v[17:18], v[8:9]
	v_fma_f64 v[4:5], v[19:20], v[17:18], v[0:1]
	v_fma_f64 v[6:7], -v[21:22], v[17:18], v[8:9]
	v_fma_f64 v[8:9], v[19:20], v[17:18], -v[0:1]
	s_delay_alu instid0(VALU_DEP_4) | instskip(NEXT) | instid1(VALU_DEP_4)
	v_fma_f64 v[0:1], -v[19:20], v[15:16], v[2:3]
	v_fma_f64 v[2:3], v[21:22], v[15:16], v[4:5]
	s_delay_alu instid0(VALU_DEP_4) | instskip(NEXT) | instid1(VALU_DEP_4)
	v_fma_f64 v[4:5], v[19:20], v[15:16], v[6:7]
	v_fma_f64 v[6:7], v[21:22], v[15:16], v[8:9]
	ds_store_b128 v121, v[0:3] offset:7488
	ds_store_b128 v10, v[4:7] offset:14976
	ds_load_b128 v[0:3], v121 offset:9360
	ds_load_b128 v[4:7], v10 offset:13104
	s_wait_dscnt 0x0
	v_add_f64_e32 v[8:9], v[0:1], v[4:5]
	v_add_f64_e32 v[15:16], v[6:7], v[2:3]
	v_add_f64_e64 v[17:18], v[0:1], -v[4:5]
	v_add_f64_e64 v[0:1], v[2:3], -v[6:7]
	s_wait_loadcnt 0x0
	s_delay_alu instid0(VALU_DEP_2) | instskip(NEXT) | instid1(VALU_DEP_2)
	v_fma_f64 v[2:3], v[17:18], v[13:14], v[8:9]
	v_fma_f64 v[4:5], v[15:16], v[13:14], v[0:1]
	v_fma_f64 v[6:7], -v[17:18], v[13:14], v[8:9]
	v_fma_f64 v[8:9], v[15:16], v[13:14], -v[0:1]
	s_delay_alu instid0(VALU_DEP_4) | instskip(NEXT) | instid1(VALU_DEP_4)
	v_fma_f64 v[0:1], -v[15:16], v[11:12], v[2:3]
	v_fma_f64 v[2:3], v[17:18], v[11:12], v[4:5]
	s_delay_alu instid0(VALU_DEP_4) | instskip(NEXT) | instid1(VALU_DEP_4)
	v_fma_f64 v[4:5], v[15:16], v[11:12], v[6:7]
	v_fma_f64 v[6:7], v[17:18], v[11:12], v[8:9]
	ds_store_b128 v121, v[0:3] offset:9360
	ds_store_b128 v10, v[4:7] offset:13104
	global_wb scope:SCOPE_SE
	s_wait_dscnt 0x0
	s_barrier_signal -1
	s_barrier_wait -1
	global_inv scope:SCOPE_SE
	global_wb scope:SCOPE_SE
	s_barrier_signal -1
	s_barrier_wait -1
	global_inv scope:SCOPE_SE
	ds_load_b128 v[0:3], v121 offset:11232
	ds_load_b128 v[4:7], v121
	ds_load_b128 v[8:11], v121 offset:1872
	ds_load_b128 v[12:15], v121 offset:13104
	ds_load_b128 v[16:19], v121 offset:14976
	ds_load_b128 v[20:23], v121 offset:3744
	ds_load_b128 v[24:27], v121 offset:5616
	ds_load_b128 v[28:31], v121 offset:16848
	ds_load_b128 v[32:35], v121 offset:18720
	ds_load_b128 v[36:39], v121 offset:7488
	ds_load_b128 v[40:43], v121 offset:9360
	ds_load_b128 v[44:47], v121 offset:20592
	global_wb scope:SCOPE_SE
	s_wait_dscnt 0x0
	s_barrier_signal -1
	s_barrier_wait -1
	global_inv scope:SCOPE_SE
	v_add_f64_e64 v[48:49], v[4:5], -v[0:1]
	v_add_f64_e64 v[50:51], v[6:7], -v[2:3]
	;; [unrolled: 1-line block ×12, first 2 shown]
	v_add_nc_u32_e32 v1, 0x249, v54
	v_add_nc_u32_e32 v0, 0x1d4, v54
	s_delay_alu instid0(VALU_DEP_2) | instskip(NEXT) | instid1(VALU_DEP_2)
	v_and_b32_e32 v75, 1, v1
	v_lshl_add_u32 v60, v0, 5, 0
	v_lshl_add_u32 v62, v1, 5, 0
	v_lshlrev_b32_e32 v0, 1, v0
	v_lshlrev_b32_e32 v1, 1, v1
	;; [unrolled: 1-line block ×3, first 2 shown]
	s_delay_alu instid0(VALU_DEP_3) | instskip(NEXT) | instid1(VALU_DEP_3)
	v_and_or_b32 v0, 0x7fc, v0, v74
	v_and_or_b32 v1, 0x5fc, v1, v75
	s_delay_alu instid0(VALU_DEP_2) | instskip(NEXT) | instid1(VALU_DEP_2)
	v_lshl_add_u32 v0, v0, 4, 0
	v_lshl_add_u32 v1, v1, 4, 0
	v_fma_f64 v[2:3], v[4:5], 2.0, -v[48:49]
	v_fma_f64 v[4:5], v[6:7], 2.0, -v[50:51]
	;; [unrolled: 1-line block ×12, first 2 shown]
	v_lshl_add_u32 v10, v54, 4, v121
	v_lshl_add_u32 v11, v63, 5, 0
	ds_store_b128 v10, v[2:5]
	ds_store_b128 v10, v[48:51] offset:16
	ds_store_b128 v11, v[6:9]
	ds_store_b128 v11, v[12:15] offset:16
	;; [unrolled: 2-line block ×6, first 2 shown]
	global_wb scope:SCOPE_SE
	s_wait_dscnt 0x0
	s_barrier_signal -1
	s_barrier_wait -1
	global_inv scope:SCOPE_SE
	global_load_b128 v[2:5], v64, s[8:9]
	v_lshlrev_b32_e32 v10, 4, v76
	s_clause 0x2
	global_load_b128 v[6:9], v65, s[8:9]
	global_load_b128 v[10:13], v10, s[8:9]
	global_load_b64 v[38:39], v65, s[8:9] offset:8
	v_lshlrev_b32_e32 v14, 4, v77
	v_lshlrev_b32_e32 v62, 1, v63
	;; [unrolled: 1-line block ×3, first 2 shown]
	global_load_b64 v[40:41], v14, s[8:9]
	ds_load_b128 v[14:17], v121 offset:11232
	ds_load_b128 v[18:21], v121 offset:13104
	;; [unrolled: 1-line block ×6, first 2 shown]
	s_wait_loadcnt_dscnt 0x405
	v_mul_f64_e32 v[42:43], v[16:17], v[4:5]
	v_mul_f64_e32 v[44:45], v[14:15], v[4:5]
	s_wait_dscnt 0x3
	v_mul_f64_e32 v[48:49], v[24:25], v[4:5]
	s_wait_loadcnt 0x3
	v_mul_f64_e32 v[46:47], v[20:21], v[8:9]
	v_mul_f64_e32 v[8:9], v[18:19], v[8:9]
	;; [unrolled: 1-line block ×3, first 2 shown]
	s_wait_loadcnt_dscnt 0x202
	v_mul_f64_e32 v[58:59], v[28:29], v[12:13]
	v_mul_f64_e32 v[12:13], v[26:27], v[12:13]
	s_wait_dscnt 0x1
	v_mul_f64_e32 v[64:65], v[32:33], v[4:5]
	v_mul_f64_e32 v[4:5], v[30:31], v[4:5]
	s_wait_loadcnt_dscnt 0x100
	v_mul_f64_e32 v[66:67], v[36:37], v[38:39]
	v_mul_f64_e32 v[38:39], v[34:35], v[38:39]
	v_fma_f64 v[42:43], v[14:15], v[2:3], v[42:43]
	v_fma_f64 v[44:45], v[16:17], v[2:3], -v[44:45]
	v_fma_f64 v[48:49], v[22:23], v[2:3], v[48:49]
	s_wait_loadcnt 0x0
	v_fma_f64 v[46:47], v[18:19], v[40:41], v[46:47]
	v_fma_f64 v[40:41], v[20:21], v[40:41], -v[8:9]
	v_fma_f64 v[50:51], v[24:25], v[2:3], -v[50:51]
	v_fma_f64 v[58:59], v[26:27], v[10:11], v[58:59]
	v_fma_f64 v[68:69], v[28:29], v[10:11], -v[12:13]
	v_fma_f64 v[64:65], v[30:31], v[2:3], v[64:65]
	v_fma_f64 v[70:71], v[32:33], v[2:3], -v[4:5]
	v_fma_f64 v[66:67], v[34:35], v[6:7], v[66:67]
	v_fma_f64 v[72:73], v[36:37], v[6:7], -v[38:39]
	ds_load_b128 v[2:5], v121
	ds_load_b128 v[6:9], v121 offset:1872
	ds_load_b128 v[10:13], v121 offset:3744
	;; [unrolled: 1-line block ×5, first 2 shown]
	global_wb scope:SCOPE_SE
	s_wait_dscnt 0x0
	s_barrier_signal -1
	s_barrier_wait -1
	global_inv scope:SCOPE_SE
	v_add_f64_e64 v[26:27], v[2:3], -v[42:43]
	v_add_f64_e64 v[28:29], v[4:5], -v[44:45]
	;; [unrolled: 1-line block ×12, first 2 shown]
	v_lshlrev_b32_e32 v58, 1, v54
	v_lshlrev_b32_e32 v64, 1, v55
	v_and_or_b32 v65, 0x1fc, v62, v77
	v_and_or_b32 v66, 0x3fc, v60, v74
	v_and_b32_e32 v59, 3, v54
	v_and_or_b32 v50, 0xfc, v58, v74
	v_and_or_b32 v67, 0x3fc, v64, v76
	v_lshl_add_u32 v65, v65, 4, 0
	v_lshl_add_u32 v66, v66, 4, 0
	v_lshlrev_b32_e32 v51, 5, v59
	v_lshl_add_u32 v50, v50, 4, 0
	v_lshlrev_b32_e32 v68, 5, v105
	v_lshl_add_u32 v67, v67, 4, 0
	v_fma_f64 v[2:3], v[2:3], 2.0, -v[26:27]
	v_fma_f64 v[4:5], v[4:5], 2.0, -v[28:29]
	;; [unrolled: 1-line block ×12, first 2 shown]
	ds_store_b128 v50, v[2:5]
	ds_store_b128 v50, v[26:29] offset:32
	ds_store_b128 v65, v[6:9]
	ds_store_b128 v65, v[30:33] offset:32
	ds_store_b128 v66, v[10:13]
	ds_store_b128 v66, v[34:37] offset:32
	ds_store_b128 v67, v[14:17]
	ds_store_b128 v67, v[38:41] offset:32
	ds_store_b128 v0, v[18:21]
	ds_store_b128 v0, v[42:45] offset:32
	ds_store_b128 v1, v[22:25]
	ds_store_b128 v1, v[46:49] offset:32
	v_lshlrev_b32_e32 v20, 5, v106
	v_lshlrev_b32_e32 v28, 5, v107
	global_wb scope:SCOPE_SE
	s_wait_dscnt 0x0
	s_barrier_signal -1
	s_barrier_wait -1
	global_inv scope:SCOPE_SE
	s_clause 0x7
	global_load_b128 v[0:3], v51, s[8:9] offset:32
	global_load_b128 v[4:7], v51, s[8:9] offset:48
	;; [unrolled: 1-line block ×8, first 2 shown]
	ds_load_b128 v[32:35], v121 offset:7488
	ds_load_b128 v[36:39], v121 offset:14976
	;; [unrolled: 1-line block ×8, first 2 shown]
	s_wait_loadcnt_dscnt 0x707
	v_mul_f64_e32 v[77:78], v[34:35], v[2:3]
	s_wait_loadcnt_dscnt 0x606
	v_mul_f64_e32 v[79:80], v[38:39], v[6:7]
	v_mul_f64_e32 v[2:3], v[32:33], v[2:3]
	v_mul_f64_e32 v[6:7], v[36:37], v[6:7]
	s_wait_loadcnt_dscnt 0x505
	v_mul_f64_e32 v[81:82], v[42:43], v[10:11]
	s_wait_loadcnt_dscnt 0x404
	v_mul_f64_e32 v[83:84], v[46:47], v[14:15]
	v_mul_f64_e32 v[10:11], v[40:41], v[10:11]
	v_mul_f64_e32 v[14:15], v[44:45], v[14:15]
	;; [unrolled: 6-line block ×4, first 2 shown]
	v_fma_f64 v[32:33], v[32:33], v[0:1], v[77:78]
	v_fma_f64 v[36:37], v[36:37], v[4:5], v[79:80]
	v_fma_f64 v[34:35], v[34:35], v[0:1], -v[2:3]
	v_fma_f64 v[38:39], v[38:39], v[4:5], -v[6:7]
	v_fma_f64 v[40:41], v[40:41], v[8:9], v[81:82]
	v_fma_f64 v[44:45], v[44:45], v[12:13], v[83:84]
	v_fma_f64 v[42:43], v[42:43], v[8:9], -v[10:11]
	v_fma_f64 v[46:47], v[46:47], v[12:13], -v[14:15]
	;; [unrolled: 4-line block ×4, first 2 shown]
	ds_load_b128 v[0:3], v121
	ds_load_b128 v[4:7], v121 offset:1872
	ds_load_b128 v[8:11], v121 offset:3744
	;; [unrolled: 1-line block ×3, first 2 shown]
	global_wb scope:SCOPE_SE
	s_wait_dscnt 0x0
	s_barrier_signal -1
	s_barrier_wait -1
	global_inv scope:SCOPE_SE
	v_add_f64_e32 v[77:78], v[0:1], v[32:33]
	v_add_f64_e32 v[26:27], v[32:33], v[36:37]
	v_add_f64_e32 v[79:80], v[2:3], v[34:35]
	v_add_f64_e32 v[28:29], v[34:35], v[38:39]
	v_add_f64_e32 v[81:82], v[4:5], v[40:41]
	v_add_f64_e32 v[30:31], v[40:41], v[44:45]
	v_add_f64_e32 v[83:84], v[6:7], v[42:43]
	v_add_f64_e32 v[67:68], v[42:43], v[46:47]
	v_add_f64_e32 v[85:86], v[8:9], v[48:49]
	v_add_f64_e32 v[69:70], v[48:49], v[65:66]
	v_add_f64_e32 v[87:88], v[10:11], v[16:17]
	v_add_f64_e32 v[71:72], v[16:17], v[18:19]
	v_add_f64_e32 v[89:90], v[12:13], v[20:21]
	v_add_f64_e32 v[73:74], v[20:21], v[50:51]
	v_add_f64_e32 v[91:92], v[14:15], v[22:23]
	v_add_f64_e32 v[75:76], v[22:23], v[24:25]
	v_add_f64_e64 v[34:35], v[34:35], -v[38:39]
	v_add_f64_e64 v[32:33], v[32:33], -v[36:37]
	;; [unrolled: 1-line block ×8, first 2 shown]
	v_fma_f64 v[26:27], v[26:27], -0.5, v[0:1]
	v_add_f64_e32 v[0:1], v[77:78], v[36:37]
	v_fma_f64 v[93:94], v[28:29], -0.5, v[2:3]
	v_add_f64_e32 v[2:3], v[79:80], v[38:39]
	;; [unrolled: 2-line block ×4, first 2 shown]
	v_fma_f64 v[69:70], v[69:70], -0.5, v[8:9]
	v_fma_f64 v[71:72], v[71:72], -0.5, v[10:11]
	v_add_f64_e32 v[28:29], v[89:90], v[50:51]
	v_fma_f64 v[73:74], v[73:74], -0.5, v[12:13]
	v_add_f64_e32 v[12:13], v[85:86], v[65:66]
	;; [unrolled: 2-line block ×3, first 2 shown]
	v_add_f64_e32 v[30:31], v[91:92], v[24:25]
	v_fma_f64 v[4:5], v[34:35], s[0:1], v[26:27]
	s_wait_alu 0xfffe
	v_fma_f64 v[24:25], v[34:35], s[4:5], v[26:27]
	v_fma_f64 v[6:7], v[32:33], s[4:5], v[93:94]
	;; [unrolled: 1-line block ×15, first 2 shown]
	v_lshrrev_b32_e32 v32, 2, v54
	v_lshrrev_b32_e32 v33, 2, v63
	;; [unrolled: 1-line block ×4, first 2 shown]
	v_cmp_gt_u32_e64 s0, 0x6c, v54
	v_mul_u32_u24_e32 v32, 12, v32
	v_mul_u32_u24_e32 v33, 12, v33
	v_mul_u32_u24_e32 v34, 12, v34
	v_mul_u32_u24_e32 v35, 12, v35
	s_delay_alu instid0(VALU_DEP_4) | instskip(NEXT) | instid1(VALU_DEP_4)
	v_or_b32_e32 v32, v32, v59
	v_or_b32_e32 v33, v33, v105
	s_delay_alu instid0(VALU_DEP_4) | instskip(NEXT) | instid1(VALU_DEP_4)
	v_or_b32_e32 v34, v34, v106
	v_or_b32_e32 v35, v35, v107
	s_delay_alu instid0(VALU_DEP_4) | instskip(NEXT) | instid1(VALU_DEP_4)
	v_lshl_add_u32 v32, v32, 4, 0
	v_lshl_add_u32 v33, v33, 4, 0
	s_delay_alu instid0(VALU_DEP_4) | instskip(NEXT) | instid1(VALU_DEP_4)
	v_lshl_add_u32 v34, v34, 4, 0
	v_lshl_add_u32 v35, v35, 4, 0
	ds_store_b128 v32, v[0:3]
	ds_store_b128 v32, v[4:7] offset:64
	ds_store_b128 v32, v[24:27] offset:128
	ds_store_b128 v33, v[20:23]
	ds_store_b128 v33, v[8:11] offset:64
	ds_store_b128 v33, v[40:43] offset:128
	;; [unrolled: 3-line block ×4, first 2 shown]
	global_wb scope:SCOPE_SE
	s_wait_dscnt 0x0
	s_barrier_signal -1
	s_barrier_wait -1
	global_inv scope:SCOPE_SE
                                        ; implicit-def: $vgpr34_vgpr35
	s_and_saveexec_b32 s1, s0
	s_cbranch_execz .LBB0_21
; %bb.20:
	ds_load_b128 v[0:3], v121
	ds_load_b128 v[4:7], v121 offset:1728
	ds_load_b128 v[24:27], v121 offset:3456
	;; [unrolled: 1-line block ×12, first 2 shown]
.LBB0_21:
	s_wait_alu 0xfffe
	s_or_b32 exec_lo, exec_lo, s1
	global_wb scope:SCOPE_SE
	s_wait_dscnt 0x0
	s_barrier_signal -1
	s_barrier_wait -1
	global_inv scope:SCOPE_SE
	s_and_saveexec_b32 s33, s0
	s_cbranch_execz .LBB0_23
; %bb.22:
	v_and_b32_e32 v59, 0xff, v54
	s_mov_b32 s35, 0x3fddbe06
	s_mov_b32 s34, 0x4267c47c
	;; [unrolled: 1-line block ×4, first 2 shown]
	v_mul_lo_u16 v59, 0xab, v59
	s_mov_b32 s20, 0x42a4c3d2
	s_mov_b32 s14, 0x24c2f84
	;; [unrolled: 1-line block ×4, first 2 shown]
	v_lshrrev_b16 v59, 11, v59
	s_mov_b32 s17, 0xbfedeba7
	s_mov_b32 s21, 0x3fea55e2
	;; [unrolled: 1-line block ×4, first 2 shown]
	v_mul_lo_u16 v65, v59, 12
	s_mov_b32 s31, 0xbfea55e2
	s_mov_b32 s29, 0xbfefc445
	s_wait_alu 0xfffe
	s_mov_b32 s30, s20
	s_mov_b32 s28, s18
	v_sub_nc_u16 v65, v54, v65
	s_mov_b32 s10, 0xebaa3ed8
	s_mov_b32 s0, 0xb2365da1
	;; [unrolled: 1-line block ×4, first 2 shown]
	v_and_b32_e32 v122, 0xff, v65
	s_mov_b32 s24, 0xe00740e9
	s_mov_b32 s22, 0x93053d00
	;; [unrolled: 1-line block ×4, first 2 shown]
	v_mul_u32_u24_e32 v65, 12, v122
	s_mov_b32 s13, 0x3fe22d96
	s_mov_b32 s5, 0xbfe7f3cc
	;; [unrolled: 1-line block ×4, first 2 shown]
	v_lshlrev_b32_e32 v87, 4, v65
	s_mov_b32 s37, 0x3fe5384d
	s_mov_b32 s36, s14
	s_clause 0x1
	global_load_b128 v[67:70], v87, s[8:9] offset:224
	global_load_b128 v[71:74], v87, s[8:9] offset:240
	s_wait_loadcnt 0x1
	v_mul_f64_e32 v[65:66], v[42:43], v[69:70]
	s_delay_alu instid0(VALU_DEP_1) | instskip(SKIP_1) | instid1(VALU_DEP_1)
	v_fma_f64 v[65:66], v[40:41], v[67:68], v[65:66]
	v_mul_f64_e32 v[40:41], v[40:41], v[69:70]
	v_fma_f64 v[42:43], v[42:43], v[67:68], -v[40:41]
	s_clause 0x1
	global_load_b128 v[67:70], v87, s[8:9] offset:272
	global_load_b128 v[75:78], v87, s[8:9] offset:256
	s_wait_loadcnt 0x1
	v_mul_f64_e32 v[40:41], v[46:47], v[69:70]
	s_delay_alu instid0(VALU_DEP_1) | instskip(SKIP_1) | instid1(VALU_DEP_1)
	v_fma_f64 v[40:41], v[44:45], v[67:68], v[40:41]
	v_mul_f64_e32 v[44:45], v[44:45], v[69:70]
	v_fma_f64 v[44:45], v[46:47], v[67:68], -v[44:45]
	s_clause 0x3
	global_load_b128 v[67:70], v87, s[8:9] offset:176
	global_load_b128 v[79:82], v87, s[8:9] offset:160
	;; [unrolled: 1-line block ×4, first 2 shown]
	s_wait_loadcnt 0x3
	v_mul_f64_e32 v[46:47], v[26:27], v[69:70]
	s_delay_alu instid0(VALU_DEP_1) | instskip(SKIP_1) | instid1(VALU_DEP_1)
	v_fma_f64 v[46:47], v[24:25], v[67:68], v[46:47]
	v_mul_f64_e32 v[24:25], v[24:25], v[69:70]
	v_fma_f64 v[67:68], v[26:27], v[67:68], -v[24:25]
	s_wait_loadcnt 0x1
	v_mul_f64_e32 v[24:25], v[50:51], v[85:86]
	v_mul_f64_e32 v[26:27], v[48:49], v[85:86]
	s_delay_alu instid0(VALU_DEP_2) | instskip(NEXT) | instid1(VALU_DEP_2)
	v_fma_f64 v[24:25], v[48:49], v[83:84], v[24:25]
	v_fma_f64 v[26:27], v[50:51], v[83:84], -v[26:27]
	global_load_b128 v[83:86], v87, s[8:9] offset:192
	s_wait_loadcnt 0x0
	v_mul_f64_e32 v[48:49], v[22:23], v[85:86]
	s_delay_alu instid0(VALU_DEP_1) | instskip(SKIP_1) | instid1(VALU_DEP_1)
	v_fma_f64 v[48:49], v[20:21], v[83:84], v[48:49]
	v_mul_f64_e32 v[20:21], v[20:21], v[85:86]
	v_fma_f64 v[22:23], v[22:23], v[83:84], -v[20:21]
	s_clause 0x1
	global_load_b128 v[83:86], v87, s[8:9] offset:304
	global_load_b128 v[93:96], v87, s[8:9] offset:288
	s_wait_loadcnt 0x1
	v_mul_f64_e32 v[20:21], v[38:39], v[85:86]
	s_delay_alu instid0(VALU_DEP_1) | instskip(SKIP_1) | instid1(VALU_DEP_1)
	v_fma_f64 v[20:21], v[36:37], v[83:84], v[20:21]
	v_mul_f64_e32 v[36:37], v[36:37], v[85:86]
	v_fma_f64 v[36:37], v[38:39], v[83:84], -v[36:37]
	global_load_b128 v[83:86], v87, s[8:9] offset:208
	s_wait_loadcnt 0x0
	v_mul_f64_e32 v[38:39], v[10:11], v[85:86]
	s_delay_alu instid0(VALU_DEP_1) | instskip(SKIP_1) | instid1(VALU_DEP_1)
	v_fma_f64 v[38:39], v[8:9], v[83:84], v[38:39]
	v_mul_f64_e32 v[8:9], v[8:9], v[85:86]
	v_fma_f64 v[50:51], v[10:11], v[83:84], -v[8:9]
	v_mul_f64_e32 v[8:9], v[30:31], v[95:96]
	v_mul_f64_e32 v[10:11], v[28:29], v[95:96]
	s_delay_alu instid0(VALU_DEP_2) | instskip(SKIP_1) | instid1(VALU_DEP_3)
	v_fma_f64 v[8:9], v[28:29], v[93:94], v[8:9]
	v_mul_f64_e32 v[28:29], v[14:15], v[73:74]
	v_fma_f64 v[10:11], v[30:31], v[93:94], -v[10:11]
	v_add_f64_e64 v[30:31], v[42:43], -v[44:45]
	s_delay_alu instid0(VALU_DEP_3) | instskip(SKIP_2) | instid1(VALU_DEP_4)
	v_fma_f64 v[28:29], v[12:13], v[71:72], v[28:29]
	v_mul_f64_e32 v[12:13], v[12:13], v[73:74]
	v_add_f64_e64 v[73:74], v[38:39], -v[8:9]
	v_mul_f64_e32 v[101:102], s[34:35], v[30:31]
	v_mul_f64_e32 v[177:178], s[16:17], v[30:31]
	;; [unrolled: 1-line block ×3, first 2 shown]
	v_fma_f64 v[14:15], v[14:15], v[71:72], -v[12:13]
	v_mul_f64_e32 v[12:13], v[18:19], v[77:78]
	v_add_f64_e64 v[71:72], v[50:51], -v[10:11]
	v_mul_f64_e32 v[191:192], s[36:37], v[73:74]
	s_delay_alu instid0(VALU_DEP_3) | instskip(SKIP_3) | instid1(VALU_DEP_4)
	v_fma_f64 v[12:13], v[16:17], v[75:76], v[12:13]
	v_mul_f64_e32 v[16:17], v[16:17], v[77:78]
	v_add_f64_e64 v[77:78], v[48:49], -v[20:21]
	v_mul_f64_e32 v[193:194], s[36:37], v[71:72]
	v_add_f64_e32 v[185:186], v[28:29], v[12:13]
	s_delay_alu instid0(VALU_DEP_4) | instskip(SKIP_3) | instid1(VALU_DEP_4)
	v_fma_f64 v[16:17], v[18:19], v[75:76], -v[16:17]
	v_mul_f64_e32 v[18:19], v[6:7], v[81:82]
	v_add_f64_e64 v[75:76], v[22:23], -v[36:37]
	v_mul_f64_e32 v[93:94], s[34:35], v[77:78]
	v_add_f64_e64 v[69:70], v[14:15], -v[16:17]
	s_delay_alu instid0(VALU_DEP_4)
	v_fma_f64 v[18:19], v[4:5], v[79:80], v[18:19]
	v_mul_f64_e32 v[4:5], v[4:5], v[81:82]
	v_add_f64_e64 v[81:82], v[46:47], -v[24:25]
	v_mul_f64_e32 v[95:96], s[34:35], v[75:76]
	v_add_f64_e32 v[181:182], v[14:15], v[16:17]
	v_mul_f64_e32 v[189:190], s[26:27], v[75:76]
	v_mul_f64_e32 v[85:86], s[34:35], v[69:70]
	;; [unrolled: 1-line block ×3, first 2 shown]
	v_fma_f64 v[87:88], v[6:7], v[79:80], -v[4:5]
	v_mul_f64_e32 v[4:5], v[34:35], v[91:92]
	v_mul_f64_e32 v[6:7], v[32:33], v[91:92]
	v_add_f64_e64 v[79:80], v[67:68], -v[26:27]
	v_mul_f64_e32 v[127:128], s[34:35], v[81:82]
	v_mul_f64_e32 v[91:92], s[34:35], v[71:72]
	;; [unrolled: 1-line block ×4, first 2 shown]
	v_fma_f64 v[4:5], v[32:33], v[89:90], v[4:5]
	v_fma_f64 v[6:7], v[34:35], v[89:90], -v[6:7]
	v_add_f64_e64 v[34:35], v[65:66], -v[40:41]
	v_add_f64_e64 v[32:33], v[28:29], -v[12:13]
	v_mul_f64_e32 v[129:130], s[34:35], v[79:80]
	v_mul_f64_e32 v[89:90], s[34:35], v[73:74]
	v_add_f64_e64 v[97:98], v[18:19], -v[4:5]
	v_add_f64_e32 v[113:114], v[87:88], v[6:7]
	v_mul_f64_e32 v[103:104], s[34:35], v[34:35]
	v_mul_f64_e32 v[83:84], s[34:35], v[32:33]
	s_mov_b32 s35, 0xbfddbe06
	v_add_f64_e32 v[143:144], v[18:19], v[4:5]
	v_add_f64_e32 v[18:19], v[0:1], v[18:19]
	v_mul_f64_e32 v[173:174], s[16:17], v[34:35]
	v_mul_f64_e32 v[183:184], s[18:19], v[32:33]
	;; [unrolled: 1-line block ×7, first 2 shown]
	s_wait_alu 0xfffe
	v_mul_f64_e32 v[109:110], s[28:29], v[97:98]
	v_mul_f64_e32 v[111:112], s[30:31], v[97:98]
	;; [unrolled: 1-line block ×3, first 2 shown]
	v_add_f64_e32 v[18:19], v[18:19], v[46:47]
	v_fma_f64 v[115:116], v[113:114], s[22:23], v[99:100]
	v_fma_f64 v[99:100], v[113:114], s[22:23], -v[99:100]
	v_fma_f64 v[117:118], v[113:114], s[4:5], v[105:106]
	v_fma_f64 v[105:106], v[113:114], s[4:5], -v[105:106]
	;; [unrolled: 2-line block ×6, first 2 shown]
	v_add_f64_e64 v[97:98], v[87:88], -v[6:7]
	v_add_f64_e32 v[87:88], v[2:3], v[87:88]
	v_add_f64_e32 v[18:19], v[18:19], v[48:49]
	;; [unrolled: 1-line block ×10, first 2 shown]
	v_mul_f64_e32 v[133:134], s[26:27], v[97:98]
	v_mul_f64_e32 v[135:136], s[14:15], v[97:98]
	v_mul_f64_e32 v[137:138], s[16:17], v[97:98]
	v_mul_f64_e32 v[139:140], s[28:29], v[97:98]
	v_mul_f64_e32 v[141:142], s[30:31], v[97:98]
	v_mul_f64_e32 v[97:98], s[34:35], v[97:98]
	s_mov_b32 s35, 0x3fcea1e5
	s_mov_b32 s34, s26
	v_add_f64_e32 v[18:19], v[18:19], v[38:39]
	v_fma_f64 v[145:146], v[143:144], s[22:23], -v[133:134]
	v_fma_f64 v[133:134], v[143:144], s[22:23], v[133:134]
	v_fma_f64 v[147:148], v[143:144], s[4:5], -v[135:136]
	v_fma_f64 v[135:136], v[143:144], s[4:5], v[135:136]
	;; [unrolled: 2-line block ×6, first 2 shown]
	v_add_f64_e32 v[97:98], v[2:3], v[131:132]
	v_mul_f64_e32 v[131:132], s[14:15], v[77:78]
	v_add_f64_e32 v[18:19], v[18:19], v[65:66]
	v_add_f64_e32 v[145:146], v[0:1], v[145:146]
	;; [unrolled: 1-line block ×19, first 2 shown]
	s_delay_alu instid0(VALU_DEP_3) | instskip(SKIP_1) | instid1(VALU_DEP_2)
	v_fma_f64 v[111:112], v[0:1], s[24:25], v[127:128]
	v_fma_f64 v[127:128], v[0:1], s[24:25], -v[127:128]
	v_add_f64_e32 v[123:124], v[111:112], v[157:158]
	v_add_f64_e32 v[111:112], v[46:47], v[24:25]
	;; [unrolled: 1-line block ×3, first 2 shown]
	s_delay_alu instid0(VALU_DEP_4) | instskip(NEXT) | instid1(VALU_DEP_3)
	v_add_f64_e32 v[127:128], v[127:128], v[159:160]
	v_fma_f64 v[113:114], v[111:112], s[24:25], -v[129:130]
	v_fma_f64 v[129:130], v[111:112], s[24:25], v[129:130]
	s_delay_alu instid0(VALU_DEP_2) | instskip(SKIP_1) | instid1(VALU_DEP_3)
	v_add_f64_e32 v[125:126], v[113:114], v[145:146]
	v_add_f64_e32 v[113:114], v[22:23], v[36:37]
	;; [unrolled: 1-line block ×3, first 2 shown]
	v_fma_f64 v[133:134], v[185:186], s[10:11], v[187:188]
	s_delay_alu instid0(VALU_DEP_3) | instskip(SKIP_1) | instid1(VALU_DEP_2)
	v_fma_f64 v[137:138], v[113:114], s[4:5], v[131:132]
	v_fma_f64 v[131:132], v[113:114], s[4:5], -v[131:132]
	v_add_f64_e32 v[123:124], v[137:138], v[123:124]
	v_mul_f64_e32 v[137:138], s[14:15], v[75:76]
	s_delay_alu instid0(VALU_DEP_3) | instskip(NEXT) | instid1(VALU_DEP_2)
	v_add_f64_e32 v[127:128], v[131:132], v[127:128]
	v_fma_f64 v[143:144], v[153:154], s[4:5], -v[137:138]
	v_fma_f64 v[131:132], v[153:154], s[4:5], v[137:138]
	v_mul_f64_e32 v[137:138], s[18:19], v[81:82]
	s_delay_alu instid0(VALU_DEP_3) | instskip(SKIP_1) | instid1(VALU_DEP_4)
	v_add_f64_e32 v[125:126], v[143:144], v[125:126]
	v_mul_f64_e32 v[143:144], s[20:21], v[73:74]
	v_add_f64_e32 v[129:130], v[131:132], v[129:130]
	s_delay_alu instid0(VALU_DEP_2) | instskip(SKIP_4) | instid1(VALU_DEP_3)
	v_fma_f64 v[145:146], v[155:156], s[12:13], v[143:144]
	v_fma_f64 v[131:132], v[155:156], s[12:13], -v[143:144]
	v_mul_f64_e32 v[143:144], s[18:19], v[79:80]
	s_mov_b32 s19, 0x3fedeba7
	s_mov_b32 s18, s16
	v_add_f64_e32 v[123:124], v[145:146], v[123:124]
	v_mul_f64_e32 v[145:146], s[20:21], v[71:72]
	s_delay_alu instid0(VALU_DEP_4) | instskip(NEXT) | instid1(VALU_DEP_2)
	v_add_f64_e32 v[127:128], v[131:132], v[127:128]
	v_fma_f64 v[171:172], v[157:158], s[12:13], -v[145:146]
	v_fma_f64 v[131:132], v[157:158], s[12:13], v[145:146]
	v_mul_f64_e32 v[145:146], s[30:31], v[77:78]
	s_delay_alu instid0(VALU_DEP_3) | instskip(SKIP_1) | instid1(VALU_DEP_4)
	v_add_f64_e32 v[125:126], v[171:172], v[125:126]
	v_add_f64_e32 v[171:172], v[42:43], v[44:45]
	;; [unrolled: 1-line block ×3, first 2 shown]
	s_delay_alu instid0(VALU_DEP_2) | instskip(SKIP_1) | instid1(VALU_DEP_2)
	v_fma_f64 v[175:176], v[171:172], s[0:1], v[173:174]
	v_fma_f64 v[131:132], v[171:172], s[0:1], -v[173:174]
	v_add_f64_e32 v[123:124], v[175:176], v[123:124]
	v_add_f64_e32 v[175:176], v[65:66], v[40:41]
	s_delay_alu instid0(VALU_DEP_3) | instskip(NEXT) | instid1(VALU_DEP_2)
	v_add_f64_e32 v[127:128], v[131:132], v[127:128]
	v_fma_f64 v[131:132], v[175:176], s[0:1], v[177:178]
	v_fma_f64 v[179:180], v[175:176], s[0:1], -v[177:178]
	v_mul_f64_e32 v[177:178], s[16:17], v[32:33]
	s_delay_alu instid0(VALU_DEP_3) | instskip(SKIP_1) | instid1(VALU_DEP_4)
	v_add_f64_e32 v[131:132], v[131:132], v[129:130]
	v_fma_f64 v[129:130], v[181:182], s[10:11], -v[183:184]
	v_add_f64_e32 v[179:180], v[179:180], v[125:126]
	v_fma_f64 v[125:126], v[181:182], s[10:11], v[183:184]
	v_mul_f64_e32 v[183:184], s[16:17], v[79:80]
	s_delay_alu instid0(VALU_DEP_4)
	v_add_f64_e32 v[129:130], v[129:130], v[127:128]
	v_add_f64_e32 v[127:128], v[133:134], v[131:132]
	v_fma_f64 v[131:132], v[0:1], s[10:11], v[137:138]
	v_fma_f64 v[133:134], v[111:112], s[10:11], -v[143:144]
	v_fma_f64 v[137:138], v[0:1], s[10:11], -v[137:138]
	v_fma_f64 v[143:144], v[111:112], s[10:11], v[143:144]
	v_add_f64_e32 v[125:126], v[125:126], v[123:124]
	v_fma_f64 v[123:124], v[185:186], s[10:11], -v[187:188]
	v_mul_f64_e32 v[187:188], s[26:27], v[77:78]
	v_add_f64_e32 v[131:132], v[131:132], v[161:162]
	v_add_f64_e32 v[133:134], v[133:134], v[147:148]
	v_fma_f64 v[147:148], v[113:114], s[12:13], v[145:146]
	v_add_f64_e32 v[137:138], v[137:138], v[163:164]
	v_add_f64_e32 v[135:136], v[143:144], v[135:136]
	v_fma_f64 v[143:144], v[113:114], s[12:13], -v[145:146]
	v_add_f64_e32 v[123:124], v[123:124], v[179:180]
	v_mul_f64_e32 v[179:180], s[16:17], v[69:70]
	s_wait_alu 0xfffe
	v_mul_f64_e32 v[163:164], s[34:35], v[34:35]
	v_add_f64_e32 v[131:132], v[147:148], v[131:132]
	v_mul_f64_e32 v[147:148], s[30:31], v[75:76]
	v_add_f64_e32 v[137:138], v[143:144], v[137:138]
	s_delay_alu instid0(VALU_DEP_2) | instskip(SKIP_2) | instid1(VALU_DEP_3)
	v_fma_f64 v[159:160], v[153:154], s[12:13], -v[147:148]
	v_fma_f64 v[143:144], v[153:154], s[12:13], v[147:148]
	v_mul_f64_e32 v[147:148], s[36:37], v[81:82]
	v_add_f64_e32 v[133:134], v[159:160], v[133:134]
	v_mul_f64_e32 v[159:160], s[34:35], v[73:74]
	s_delay_alu instid0(VALU_DEP_4) | instskip(NEXT) | instid1(VALU_DEP_2)
	v_add_f64_e32 v[135:136], v[143:144], v[135:136]
	v_fma_f64 v[161:162], v[155:156], s[22:23], v[159:160]
	v_fma_f64 v[143:144], v[155:156], s[22:23], -v[159:160]
	v_mul_f64_e32 v[159:160], s[36:37], v[79:80]
	s_delay_alu instid0(VALU_DEP_3) | instskip(SKIP_1) | instid1(VALU_DEP_4)
	v_add_f64_e32 v[131:132], v[161:162], v[131:132]
	v_mul_f64_e32 v[161:162], s[34:35], v[71:72]
	v_add_f64_e32 v[137:138], v[143:144], v[137:138]
	s_delay_alu instid0(VALU_DEP_2) | instskip(SKIP_3) | instid1(VALU_DEP_4)
	v_fma_f64 v[173:174], v[157:158], s[22:23], -v[161:162]
	v_fma_f64 v[143:144], v[157:158], s[22:23], v[161:162]
	v_mul_f64_e32 v[161:162], s[28:29], v[71:72]
	v_mul_f64_e32 v[71:72], s[16:17], v[71:72]
	v_add_f64_e32 v[133:134], v[173:174], v[133:134]
	v_fma_f64 v[173:174], v[171:172], s[24:25], v[103:104]
	v_add_f64_e32 v[135:136], v[143:144], v[135:136]
	v_fma_f64 v[103:104], v[171:172], s[24:25], -v[103:104]
	v_fma_f64 v[143:144], v[113:114], s[24:25], v[93:94]
	v_fma_f64 v[93:94], v[113:114], s[24:25], -v[93:94]
	v_add_f64_e32 v[131:132], v[173:174], v[131:132]
	v_fma_f64 v[173:174], v[175:176], s[24:25], -v[101:102]
	v_fma_f64 v[101:102], v[175:176], s[24:25], v[101:102]
	v_add_f64_e32 v[103:104], v[103:104], v[137:138]
	v_fma_f64 v[137:138], v[185:186], s[0:1], v[179:180]
	s_delay_alu instid0(VALU_DEP_4) | instskip(NEXT) | instid1(VALU_DEP_4)
	v_add_f64_e32 v[173:174], v[173:174], v[133:134]
	v_add_f64_e32 v[101:102], v[101:102], v[135:136]
	v_fma_f64 v[135:136], v[181:182], s[0:1], -v[177:178]
	v_fma_f64 v[133:134], v[181:182], s[0:1], v[177:178]
	v_mul_f64_e32 v[177:178], s[20:21], v[69:70]
	v_mul_f64_e32 v[69:70], s[26:27], v[69:70]
	v_add_f64_e32 v[101:102], v[137:138], v[101:102]
	v_add_f64_e32 v[103:104], v[135:136], v[103:104]
	v_fma_f64 v[135:136], v[0:1], s[4:5], v[147:148]
	v_fma_f64 v[137:138], v[111:112], s[4:5], -v[159:160]
	v_add_f64_e32 v[133:134], v[133:134], v[131:132]
	v_fma_f64 v[131:132], v[185:186], s[0:1], -v[179:180]
	v_mul_f64_e32 v[179:180], s[16:17], v[81:82]
	v_fma_f64 v[147:148], v[0:1], s[4:5], -v[147:148]
	v_fma_f64 v[159:160], v[111:112], s[4:5], v[159:160]
	v_mul_f64_e32 v[81:82], s[30:31], v[81:82]
	v_add_f64_e32 v[135:136], v[135:136], v[165:166]
	v_add_f64_e32 v[137:138], v[137:138], v[149:150]
	v_mul_f64_e32 v[149:150], s[28:29], v[73:74]
	v_mul_f64_e32 v[165:166], s[34:35], v[30:31]
	v_add_f64_e32 v[131:132], v[131:132], v[173:174]
	v_mul_f64_e32 v[173:174], s[20:21], v[32:33]
	v_add_f64_e32 v[147:148], v[147:148], v[167:168]
	v_add_f64_e32 v[119:120], v[159:160], v[119:120]
	v_mul_f64_e32 v[73:74], s[16:17], v[73:74]
	v_add_f64_e32 v[135:136], v[143:144], v[135:136]
	v_fma_f64 v[143:144], v[153:154], s[24:25], -v[95:96]
	v_fma_f64 v[95:96], v[153:154], s[24:25], v[95:96]
	v_add_f64_e32 v[93:94], v[93:94], v[147:148]
	v_fma_f64 v[147:148], v[185:186], s[12:13], v[177:178]
	s_delay_alu instid0(VALU_DEP_4) | instskip(SKIP_3) | instid1(VALU_DEP_3)
	v_add_f64_e32 v[137:138], v[143:144], v[137:138]
	v_fma_f64 v[143:144], v[155:156], s[10:11], v[149:150]
	v_add_f64_e32 v[95:96], v[95:96], v[119:120]
	v_fma_f64 v[119:120], v[155:156], s[10:11], -v[149:150]
	v_add_f64_e32 v[135:136], v[143:144], v[135:136]
	v_fma_f64 v[143:144], v[157:158], s[10:11], -v[161:162]
	s_delay_alu instid0(VALU_DEP_3) | instskip(SKIP_1) | instid1(VALU_DEP_3)
	v_add_f64_e32 v[93:94], v[119:120], v[93:94]
	v_fma_f64 v[119:120], v[157:158], s[10:11], v[161:162]
	v_add_f64_e32 v[137:138], v[143:144], v[137:138]
	v_fma_f64 v[143:144], v[171:172], s[22:23], v[163:164]
	s_delay_alu instid0(VALU_DEP_3) | instskip(SKIP_1) | instid1(VALU_DEP_3)
	v_add_f64_e32 v[95:96], v[119:120], v[95:96]
	v_fma_f64 v[119:120], v[171:172], s[22:23], -v[163:164]
	v_add_f64_e32 v[135:136], v[143:144], v[135:136]
	v_fma_f64 v[143:144], v[175:176], s[22:23], -v[165:166]
	s_delay_alu instid0(VALU_DEP_3) | instskip(SKIP_1) | instid1(VALU_DEP_3)
	v_add_f64_e32 v[93:94], v[119:120], v[93:94]
	v_fma_f64 v[119:120], v[175:176], s[22:23], v[165:166]
	v_add_f64_e32 v[143:144], v[143:144], v[137:138]
	v_fma_f64 v[137:138], v[181:182], s[12:13], v[173:174]
	s_delay_alu instid0(VALU_DEP_3) | instskip(SKIP_1) | instid1(VALU_DEP_3)
	v_add_f64_e32 v[119:120], v[119:120], v[95:96]
	v_fma_f64 v[95:96], v[181:182], s[12:13], -v[173:174]
	v_add_f64_e32 v[137:138], v[137:138], v[135:136]
	v_fma_f64 v[135:136], v[185:186], s[12:13], -v[177:178]
	s_delay_alu instid0(VALU_DEP_3) | instskip(SKIP_2) | instid1(VALU_DEP_4)
	v_add_f64_e32 v[95:96], v[95:96], v[93:94]
	v_add_f64_e32 v[93:94], v[147:148], v[119:120]
	v_fma_f64 v[119:120], v[0:1], s[22:23], v[199:200]
	v_add_f64_e32 v[135:136], v[135:136], v[143:144]
	v_fma_f64 v[143:144], v[0:1], s[0:1], -v[179:180]
	s_delay_alu instid0(VALU_DEP_3) | instskip(NEXT) | instid1(VALU_DEP_2)
	v_add_f64_e32 v[117:118], v[119:120], v[117:118]
	v_add_f64_e32 v[139:140], v[143:144], v[139:140]
	v_fma_f64 v[143:144], v[111:112], s[0:1], v[183:184]
	s_delay_alu instid0(VALU_DEP_1) | instskip(SKIP_1) | instid1(VALU_DEP_1)
	v_add_f64_e32 v[141:142], v[143:144], v[141:142]
	v_fma_f64 v[143:144], v[113:114], s[22:23], -v[187:188]
	v_add_f64_e32 v[139:140], v[143:144], v[139:140]
	v_fma_f64 v[143:144], v[153:154], s[22:23], v[189:190]
	s_delay_alu instid0(VALU_DEP_1) | instskip(SKIP_1) | instid1(VALU_DEP_1)
	v_add_f64_e32 v[141:142], v[143:144], v[141:142]
	v_fma_f64 v[143:144], v[155:156], s[4:5], -v[191:192]
	;; [unrolled: 5-line block ×3, first 2 shown]
	v_add_f64_e32 v[139:140], v[143:144], v[139:140]
	v_fma_f64 v[143:144], v[175:176], s[10:11], v[197:198]
	s_delay_alu instid0(VALU_DEP_1) | instskip(SKIP_2) | instid1(VALU_DEP_2)
	v_add_f64_e32 v[143:144], v[143:144], v[141:142]
	v_fma_f64 v[141:142], v[181:182], s[24:25], -v[83:84]
	v_fma_f64 v[83:84], v[181:182], s[24:25], v[83:84]
	v_add_f64_e32 v[141:142], v[141:142], v[139:140]
	v_fma_f64 v[139:140], v[185:186], s[24:25], v[85:86]
	s_delay_alu instid0(VALU_DEP_1) | instskip(SKIP_1) | instid1(VALU_DEP_1)
	v_add_f64_e32 v[139:140], v[139:140], v[143:144]
	v_fma_f64 v[143:144], v[0:1], s[22:23], -v[199:200]
	v_add_f64_e32 v[143:144], v[143:144], v[151:152]
	v_mul_f64_e32 v[151:152], s[26:27], v[79:80]
	v_mul_f64_e32 v[79:80], s[30:31], v[79:80]
	s_delay_alu instid0(VALU_DEP_2) | instskip(SKIP_1) | instid1(VALU_DEP_2)
	v_fma_f64 v[145:146], v[111:112], s[22:23], v[151:152]
	v_fma_f64 v[119:120], v[111:112], s[22:23], -v[151:152]
	v_add_f64_e32 v[145:146], v[145:146], v[169:170]
	v_mul_f64_e32 v[169:170], s[18:19], v[77:78]
	s_delay_alu instid0(VALU_DEP_3) | instskip(SKIP_1) | instid1(VALU_DEP_3)
	v_add_f64_e32 v[115:116], v[119:120], v[115:116]
	v_mul_f64_e32 v[77:78], s[28:29], v[77:78]
	v_fma_f64 v[201:202], v[113:114], s[0:1], -v[169:170]
	v_fma_f64 v[119:120], v[113:114], s[0:1], v[169:170]
	s_delay_alu instid0(VALU_DEP_2) | instskip(SKIP_1) | instid1(VALU_DEP_3)
	v_add_f64_e32 v[143:144], v[201:202], v[143:144]
	v_mul_f64_e32 v[201:202], s[18:19], v[75:76]
	v_add_f64_e32 v[117:118], v[119:120], v[117:118]
	v_mul_f64_e32 v[75:76], s[28:29], v[75:76]
	s_delay_alu instid0(VALU_DEP_3) | instskip(SKIP_1) | instid1(VALU_DEP_2)
	v_fma_f64 v[203:204], v[153:154], s[0:1], v[201:202]
	v_fma_f64 v[119:120], v[153:154], s[0:1], -v[201:202]
	v_add_f64_e32 v[145:146], v[203:204], v[145:146]
	v_fma_f64 v[203:204], v[155:156], s[24:25], -v[89:90]
	s_delay_alu instid0(VALU_DEP_3) | instskip(SKIP_1) | instid1(VALU_DEP_3)
	v_add_f64_e32 v[115:116], v[119:120], v[115:116]
	v_fma_f64 v[89:90], v[155:156], s[24:25], v[89:90]
	v_add_f64_e32 v[143:144], v[203:204], v[143:144]
	v_fma_f64 v[203:204], v[157:158], s[24:25], v[91:92]
	v_fma_f64 v[91:92], v[157:158], s[24:25], -v[91:92]
	s_delay_alu instid0(VALU_DEP_4) | instskip(SKIP_1) | instid1(VALU_DEP_4)
	v_add_f64_e32 v[89:90], v[89:90], v[117:118]
	v_fma_f64 v[117:118], v[185:186], s[4:5], -v[211:212]
	v_add_f64_e32 v[145:146], v[203:204], v[145:146]
	v_mul_f64_e32 v[203:204], s[30:31], v[34:35]
	v_add_f64_e32 v[91:92], v[91:92], v[115:116]
	v_mul_f64_e32 v[34:35], s[14:15], v[34:35]
	s_delay_alu instid0(VALU_DEP_3) | instskip(SKIP_1) | instid1(VALU_DEP_2)
	v_fma_f64 v[205:206], v[171:172], s[12:13], -v[203:204]
	v_fma_f64 v[115:116], v[171:172], s[12:13], v[203:204]
	v_add_f64_e32 v[143:144], v[205:206], v[143:144]
	v_mul_f64_e32 v[205:206], s[30:31], v[30:31]
	s_delay_alu instid0(VALU_DEP_3) | instskip(NEXT) | instid1(VALU_DEP_2)
	v_add_f64_e32 v[89:90], v[115:116], v[89:90]
	v_fma_f64 v[115:116], v[175:176], s[12:13], -v[205:206]
	v_fma_f64 v[207:208], v[175:176], s[12:13], v[205:206]
	s_delay_alu instid0(VALU_DEP_2) | instskip(SKIP_1) | instid1(VALU_DEP_3)
	v_add_f64_e32 v[115:116], v[115:116], v[91:92]
	v_fma_f64 v[91:92], v[181:182], s[4:5], v[209:210]
	v_add_f64_e32 v[207:208], v[207:208], v[145:146]
	v_fma_f64 v[145:146], v[181:182], s[4:5], -v[209:210]
	s_delay_alu instid0(VALU_DEP_3) | instskip(SKIP_2) | instid1(VALU_DEP_4)
	v_add_f64_e32 v[91:92], v[91:92], v[89:90]
	v_add_f64_e32 v[89:90], v[117:118], v[115:116]
	v_fma_f64 v[115:116], v[0:1], s[0:1], v[179:180]
	v_add_f64_e32 v[145:146], v[145:146], v[143:144]
	v_fma_f64 v[143:144], v[185:186], s[4:5], v[211:212]
	s_delay_alu instid0(VALU_DEP_3) | instskip(SKIP_1) | instid1(VALU_DEP_3)
	v_add_f64_e32 v[109:110], v[115:116], v[109:110]
	v_fma_f64 v[115:116], v[111:112], s[0:1], -v[183:184]
	v_add_f64_e32 v[143:144], v[143:144], v[207:208]
	s_delay_alu instid0(VALU_DEP_2) | instskip(SKIP_1) | instid1(VALU_DEP_1)
	v_add_f64_e32 v[107:108], v[115:116], v[107:108]
	v_fma_f64 v[115:116], v[113:114], s[22:23], v[187:188]
	v_add_f64_e32 v[109:110], v[115:116], v[109:110]
	v_fma_f64 v[115:116], v[153:154], s[22:23], -v[189:190]
	s_delay_alu instid0(VALU_DEP_1) | instskip(SKIP_1) | instid1(VALU_DEP_1)
	v_add_f64_e32 v[107:108], v[115:116], v[107:108]
	v_fma_f64 v[115:116], v[155:156], s[4:5], v[191:192]
	v_add_f64_e32 v[109:110], v[115:116], v[109:110]
	v_fma_f64 v[115:116], v[157:158], s[4:5], -v[193:194]
	s_delay_alu instid0(VALU_DEP_1) | instskip(SKIP_1) | instid1(VALU_DEP_1)
	v_add_f64_e32 v[107:108], v[115:116], v[107:108]
	v_fma_f64 v[115:116], v[171:172], s[10:11], v[195:196]
	v_add_f64_e32 v[109:110], v[115:116], v[109:110]
	v_fma_f64 v[115:116], v[175:176], s[10:11], -v[197:198]
	s_delay_alu instid0(VALU_DEP_1) | instskip(SKIP_1) | instid1(VALU_DEP_4)
	v_add_f64_e32 v[107:108], v[115:116], v[107:108]
	v_fma_f64 v[115:116], v[185:186], s[24:25], -v[85:86]
	v_add_f64_e32 v[85:86], v[83:84], v[109:110]
	v_mul_f64_e32 v[109:110], s[26:27], v[32:33]
	s_delay_alu instid0(VALU_DEP_3) | instskip(SKIP_2) | instid1(VALU_DEP_2)
	v_add_f64_e32 v[83:84], v[115:116], v[107:108]
	v_fma_f64 v[107:108], v[0:1], s[12:13], -v[81:82]
	v_fma_f64 v[0:1], v[0:1], s[12:13], v[81:82]
	v_add_f64_e32 v[105:106], v[107:108], v[105:106]
	v_fma_f64 v[107:108], v[111:112], s[12:13], v[79:80]
	s_delay_alu instid0(VALU_DEP_3) | instskip(NEXT) | instid1(VALU_DEP_2)
	v_add_f64_e32 v[0:1], v[0:1], v[97:98]
	v_add_f64_e32 v[2:3], v[107:108], v[2:3]
	v_fma_f64 v[107:108], v[113:114], s[10:11], -v[77:78]
	s_delay_alu instid0(VALU_DEP_1) | instskip(SKIP_1) | instid1(VALU_DEP_1)
	v_add_f64_e32 v[105:106], v[107:108], v[105:106]
	v_fma_f64 v[107:108], v[153:154], s[10:11], v[75:76]
	v_add_f64_e32 v[2:3], v[107:108], v[2:3]
	v_fma_f64 v[107:108], v[155:156], s[0:1], -v[73:74]
	s_delay_alu instid0(VALU_DEP_1) | instskip(SKIP_1) | instid1(VALU_DEP_1)
	v_add_f64_e32 v[105:106], v[107:108], v[105:106]
	v_fma_f64 v[107:108], v[157:158], s[0:1], v[71:72]
	v_add_f64_e32 v[2:3], v[107:108], v[2:3]
	v_fma_f64 v[107:108], v[171:172], s[4:5], -v[34:35]
	s_delay_alu instid0(VALU_DEP_1) | instskip(SKIP_1) | instid1(VALU_DEP_1)
	v_add_f64_e32 v[105:106], v[107:108], v[105:106]
	v_mul_f64_e32 v[107:108], s[14:15], v[30:31]
	v_fma_f64 v[30:31], v[175:176], s[4:5], v[107:108]
	s_delay_alu instid0(VALU_DEP_1) | instskip(SKIP_1) | instid1(VALU_DEP_1)
	v_add_f64_e32 v[2:3], v[30:31], v[2:3]
	v_fma_f64 v[30:31], v[181:182], s[22:23], -v[109:110]
	v_add_f64_e32 v[32:33], v[30:31], v[105:106]
	v_fma_f64 v[30:31], v[185:186], s[22:23], v[69:70]
	s_delay_alu instid0(VALU_DEP_1) | instskip(SKIP_1) | instid1(VALU_DEP_1)
	v_add_f64_e32 v[30:31], v[30:31], v[2:3]
	v_add_f64_e32 v[2:3], v[87:88], v[67:68]
	;; [unrolled: 1-line block ×3, first 2 shown]
	s_delay_alu instid0(VALU_DEP_1) | instskip(NEXT) | instid1(VALU_DEP_1)
	v_add_f64_e32 v[2:3], v[2:3], v[50:51]
	v_add_f64_e32 v[2:3], v[2:3], v[42:43]
	s_delay_alu instid0(VALU_DEP_1) | instskip(SKIP_1) | instid1(VALU_DEP_2)
	v_add_f64_e32 v[2:3], v[2:3], v[14:15]
	v_add_f64_e32 v[14:15], v[18:19], v[28:29]
	;; [unrolled: 1-line block ×3, first 2 shown]
	s_delay_alu instid0(VALU_DEP_2) | instskip(SKIP_1) | instid1(VALU_DEP_3)
	v_add_f64_e32 v[12:13], v[14:15], v[12:13]
	v_fma_f64 v[14:15], v[157:158], s[0:1], -v[71:72]
	v_add_f64_e32 v[2:3], v[2:3], v[44:45]
	s_delay_alu instid0(VALU_DEP_3) | instskip(NEXT) | instid1(VALU_DEP_2)
	v_add_f64_e32 v[12:13], v[12:13], v[40:41]
	v_add_f64_e32 v[2:3], v[2:3], v[10:11]
	s_delay_alu instid0(VALU_DEP_2) | instskip(SKIP_2) | instid1(VALU_DEP_4)
	v_add_f64_e32 v[8:9], v[12:13], v[8:9]
	v_fma_f64 v[10:11], v[153:154], s[10:11], -v[75:76]
	v_fma_f64 v[12:13], v[155:156], s[0:1], v[73:74]
	v_add_f64_e32 v[2:3], v[2:3], v[36:37]
	s_delay_alu instid0(VALU_DEP_4) | instskip(NEXT) | instid1(VALU_DEP_2)
	v_add_f64_e32 v[8:9], v[8:9], v[20:21]
	v_add_f64_e32 v[2:3], v[2:3], v[26:27]
	s_delay_alu instid0(VALU_DEP_2) | instskip(NEXT) | instid1(VALU_DEP_2)
	v_add_f64_e32 v[8:9], v[8:9], v[24:25]
	v_add_f64_e32 v[6:7], v[2:3], v[6:7]
	v_fma_f64 v[2:3], v[111:112], s[12:13], -v[79:80]
	s_delay_alu instid0(VALU_DEP_3) | instskip(SKIP_1) | instid1(VALU_DEP_3)
	v_add_f64_e32 v[4:5], v[8:9], v[4:5]
	v_fma_f64 v[8:9], v[113:114], s[10:11], v[77:78]
	v_add_f64_e32 v[2:3], v[2:3], v[99:100]
	s_delay_alu instid0(VALU_DEP_2) | instskip(SKIP_1) | instid1(VALU_DEP_3)
	v_add_f64_e32 v[0:1], v[8:9], v[0:1]
	v_fma_f64 v[8:9], v[171:172], s[4:5], v[34:35]
	v_add_f64_e32 v[2:3], v[10:11], v[2:3]
	v_fma_f64 v[10:11], v[175:176], s[4:5], -v[107:108]
	s_delay_alu instid0(VALU_DEP_4) | instskip(SKIP_1) | instid1(VALU_DEP_4)
	v_add_f64_e32 v[0:1], v[12:13], v[0:1]
	v_fma_f64 v[12:13], v[181:182], s[22:23], v[109:110]
	v_add_f64_e32 v[2:3], v[14:15], v[2:3]
	v_fma_f64 v[14:15], v[185:186], s[22:23], -v[69:70]
	s_delay_alu instid0(VALU_DEP_4) | instskip(NEXT) | instid1(VALU_DEP_3)
	v_add_f64_e32 v[0:1], v[8:9], v[0:1]
	v_add_f64_e32 v[8:9], v[10:11], v[2:3]
	s_delay_alu instid0(VALU_DEP_2) | instskip(NEXT) | instid1(VALU_DEP_2)
	v_add_f64_e32 v[2:3], v[12:13], v[0:1]
	v_add_f64_e32 v[0:1], v[14:15], v[8:9]
	v_and_b32_e32 v8, 0xffff, v59
	v_lshlrev_b32_e32 v9, 4, v122
	s_delay_alu instid0(VALU_DEP_2) | instskip(NEXT) | instid1(VALU_DEP_1)
	v_mul_u32_u24_e32 v8, 0x9c0, v8
	v_add3_u32 v8, 0, v8, v9
	ds_store_b128 v8, v[139:142] offset:384
	ds_store_b128 v8, v[143:146] offset:576
	;; [unrolled: 1-line block ×11, first 2 shown]
	ds_store_b128 v8, v[4:7]
	ds_store_b128 v8, v[0:3] offset:2304
.LBB0_23:
	s_or_b32 exec_lo, exec_lo, s33
	v_lshrrev_b16 v0, 2, v61
	v_lshrrev_b16 v1, 2, v55
	v_subrev_nc_u32_e32 v2, 39, v54
	v_cmp_gt_u32_e64 s0, 39, v54
	global_wb scope:SCOPE_SE
	s_wait_dscnt 0x0
	v_dual_mov_b32 v59, 0 :: v_dual_and_b32 v0, 0xffff, v0
	v_and_b32_e32 v1, 0xffff, v1
	s_wait_alu 0xf1ff
	v_cndmask_b32_e64 v3, v2, v63, s0
	s_barrier_signal -1
	v_mul_u32_u24_e32 v0, 0xd21, v0
	s_barrier_wait -1
	v_mul_u32_u24_e32 v4, 0xd21, v1
	global_inv scope:SCOPE_SE
	s_mov_b32 s4, 0xe8584caa
	v_lshrrev_b32_e32 v2, 17, v0
	v_lshlrev_b64_e32 v[0:1], 4, v[58:59]
	v_dual_mov_b32 v63, v59 :: v_dual_lshlrev_b32 v58, 1, v3
	v_lshrrev_b32_e32 v4, 17, v4
	s_delay_alu instid0(VALU_DEP_4) | instskip(SKIP_1) | instid1(VALU_DEP_3)
	v_mul_lo_u16 v7, 0x9c, v2
	s_mov_b32 s5, 0xbfebb67a
	v_lshlrev_b64_e32 v[5:6], 4, v[58:59]
	v_add_co_u32 v0, s0, s8, v0
	v_mul_lo_u16 v4, 0x9c, v4
	v_sub_nc_u16 v7, v61, v7
	s_wait_alu 0xf1ff
	v_add_co_ci_u32_e64 v1, s0, s9, v1, s0
	v_add_co_u32 v18, s0, s8, v5
	v_sub_nc_u16 v14, v55, v4
	v_dual_mov_b32 v61, v59 :: v_dual_and_b32 v4, 0xffff, v7
	s_wait_alu 0xf1ff
	v_add_co_ci_u32_e64 v19, s0, s9, v6, s0
	s_clause 0x1
	global_load_b128 v[6:9], v[0:1], off offset:2464
	global_load_b128 v[10:13], v[0:1], off offset:2480
	v_and_b32_e32 v5, 0xffff, v14
	v_lshlrev_b32_e32 v26, 5, v4
	s_clause 0x1
	global_load_b128 v[14:17], v[18:19], off offset:2464
	global_load_b128 v[18:21], v[18:19], off offset:2480
	s_mov_b32 s11, 0x3febb67a
	s_wait_alu 0xfffe
	s_mov_b32 s10, s4
	v_lshlrev_b32_e32 v34, 5, v5
	s_clause 0x3
	global_load_b128 v[22:25], v26, s[8:9] offset:2464
	global_load_b128 v[26:29], v26, s[8:9] offset:2480
	global_load_b128 v[30:33], v34, s[8:9] offset:2464
	global_load_b128 v[34:37], v34, s[8:9] offset:2480
	ds_load_b128 v[38:41], v121 offset:7488
	ds_load_b128 v[42:45], v121 offset:14976
	;; [unrolled: 1-line block ×8, first 2 shown]
	v_cmp_lt_u32_e64 s0, 38, v54
	v_lshlrev_b32_e32 v3, 4, v3
	v_lshlrev_b64_e32 v[60:61], 4, v[60:61]
	v_mul_u32_u24_e32 v2, 0x1d40, v2
	v_lshlrev_b32_e32 v4, 4, v4
	s_wait_alu 0xf1ff
	v_cndmask_b32_e64 v55, 0, 0x1d40, s0
	v_lshl_add_u32 v5, v5, 4, 0
	s_delay_alu instid0(VALU_DEP_3) | instskip(NEXT) | instid1(VALU_DEP_3)
	v_add3_u32 v2, 0, v2, v4
	v_add3_u32 v3, 0, v55, v3
	s_wait_loadcnt_dscnt 0x707
	v_mul_f64_e32 v[50:51], v[40:41], v[8:9]
	v_mul_f64_e32 v[8:9], v[38:39], v[8:9]
	s_wait_loadcnt_dscnt 0x606
	v_mul_f64_e32 v[85:86], v[44:45], v[12:13]
	v_mul_f64_e32 v[12:13], v[42:43], v[12:13]
	;; [unrolled: 3-line block ×8, first 2 shown]
	v_fma_f64 v[38:39], v[38:39], v[6:7], v[50:51]
	v_fma_f64 v[40:41], v[40:41], v[6:7], -v[8:9]
	v_fma_f64 v[42:43], v[42:43], v[10:11], v[85:86]
	v_fma_f64 v[44:45], v[44:45], v[10:11], -v[12:13]
	;; [unrolled: 2-line block ×8, first 2 shown]
	ds_load_b128 v[6:9], v121
	ds_load_b128 v[10:13], v121 offset:1872
	ds_load_b128 v[14:17], v121 offset:3744
	ds_load_b128 v[18:21], v121 offset:5616
	global_wb scope:SCOPE_SE
	s_wait_dscnt 0x0
	s_barrier_signal -1
	s_barrier_wait -1
	global_inv scope:SCOPE_SE
	v_add_f64_e32 v[83:84], v[6:7], v[38:39]
	v_add_f64_e32 v[36:37], v[38:39], v[42:43]
	;; [unrolled: 1-line block ×3, first 2 shown]
	v_add_f64_e64 v[85:86], v[40:41], -v[44:45]
	v_add_f64_e32 v[40:41], v[8:9], v[40:41]
	v_add_f64_e32 v[71:72], v[46:47], v[50:51]
	;; [unrolled: 1-line block ×4, first 2 shown]
	v_add_f64_e64 v[38:39], v[38:39], -v[42:43]
	v_add_f64_e32 v[75:76], v[67:68], v[24:25]
	v_add_f64_e32 v[77:78], v[22:23], v[26:27]
	;; [unrolled: 1-line block ×8, first 2 shown]
	v_add_f64_e64 v[48:49], v[48:49], -v[65:66]
	v_add_f64_e64 v[46:47], v[46:47], -v[50:51]
	v_add_f64_e32 v[97:98], v[20:21], v[30:31]
	v_add_f64_e64 v[99:100], v[22:23], -v[26:27]
	v_add_f64_e64 v[67:68], v[67:68], -v[24:25]
	;; [unrolled: 1-line block ×4, first 2 shown]
	v_fma_f64 v[36:37], v[36:37], -0.5, v[6:7]
	v_fma_f64 v[69:70], v[69:70], -0.5, v[8:9]
	v_add_f64_e32 v[6:7], v[83:84], v[42:43]
	v_add_f64_e32 v[8:9], v[40:41], v[44:45]
	v_fma_f64 v[71:72], v[71:72], -0.5, v[10:11]
	v_fma_f64 v[73:74], v[73:74], -0.5, v[12:13]
	;; [unrolled: 1-line block ×4, first 2 shown]
	v_add_f64_e32 v[14:15], v[91:92], v[24:25]
	v_add_f64_e32 v[16:17], v[93:94], v[26:27]
	v_fma_f64 v[79:80], v[79:80], -0.5, v[18:19]
	v_fma_f64 v[81:82], v[81:82], -0.5, v[20:21]
	v_add_f64_e32 v[10:11], v[87:88], v[50:51]
	v_add_f64_e32 v[12:13], v[89:90], v[65:66]
	;; [unrolled: 1-line block ×3, first 2 shown]
	v_lshlrev_b64_e32 v[50:51], 4, v[62:63]
	v_add_f64_e32 v[20:21], v[97:98], v[34:35]
	v_mov_b32_e32 v65, v59
	s_delay_alu instid0(VALU_DEP_3) | instskip(NEXT) | instid1(VALU_DEP_2)
	v_add_co_u32 v50, s0, s8, v50
	v_lshlrev_b64_e32 v[62:63], 4, v[64:65]
	s_wait_alu 0xf1ff
	v_add_co_ci_u32_e64 v51, s0, s9, v51, s0
	v_fma_f64 v[22:23], v[85:86], s[4:5], v[36:37]
	s_wait_alu 0xfffe
	v_fma_f64 v[24:25], v[38:39], s[10:11], v[69:70]
	v_fma_f64 v[26:27], v[85:86], s[10:11], v[36:37]
	;; [unrolled: 1-line block ×15, first 2 shown]
	ds_store_b128 v121, v[6:9]
	ds_store_b128 v121, v[22:25] offset:2496
	ds_store_b128 v121, v[26:29] offset:4992
	ds_store_b128 v3, v[10:13]
	ds_store_b128 v3, v[30:33] offset:2496
	ds_store_b128 v3, v[34:37] offset:4992
	;; [unrolled: 3-line block ×3, first 2 shown]
	ds_store_b128 v5, v[18:21] offset:14976
	ds_store_b128 v5, v[46:49] offset:17472
	;; [unrolled: 1-line block ×3, first 2 shown]
	global_wb scope:SCOPE_SE
	s_wait_dscnt 0x0
	s_barrier_signal -1
	s_barrier_wait -1
	global_inv scope:SCOPE_SE
	s_clause 0x1
	global_load_b128 v[2:5], v[0:1], off offset:7472
	global_load_b128 v[6:9], v[0:1], off offset:7456
	v_add_co_u32 v0, s0, s8, v60
	s_wait_alu 0xf1ff
	v_add_co_ci_u32_e64 v1, s0, s9, v61, s0
	v_add_co_u32 v30, s0, s8, v62
	s_clause 0x1
	global_load_b128 v[10:13], v[50:51], off offset:7472
	global_load_b128 v[14:17], v[50:51], off offset:7456
	s_wait_alu 0xf1ff
	v_add_co_ci_u32_e64 v31, s0, s9, v63, s0
	s_clause 0x3
	global_load_b128 v[18:21], v[0:1], off offset:7456
	global_load_b128 v[22:25], v[0:1], off offset:7472
	global_load_b128 v[26:29], v[30:31], off offset:7456
	global_load_b128 v[30:33], v[30:31], off offset:7472
	ds_load_b128 v[34:37], v121 offset:7488
	ds_load_b128 v[38:41], v121 offset:14976
	;; [unrolled: 1-line block ×8, first 2 shown]
	s_wait_loadcnt_dscnt 0x706
	v_mul_f64_e32 v[50:51], v[40:41], v[4:5]
	s_wait_loadcnt 0x6
	v_mul_f64_e32 v[0:1], v[36:37], v[8:9]
	v_mul_f64_e32 v[8:9], v[34:35], v[8:9]
	;; [unrolled: 1-line block ×3, first 2 shown]
	s_wait_loadcnt_dscnt 0x504
	v_mul_f64_e32 v[78:79], v[48:49], v[12:13]
	s_wait_loadcnt 0x4
	v_mul_f64_e32 v[76:77], v[44:45], v[16:17]
	v_mul_f64_e32 v[16:17], v[42:43], v[16:17]
	;; [unrolled: 1-line block ×3, first 2 shown]
	s_wait_loadcnt_dscnt 0x303
	v_mul_f64_e32 v[80:81], v[62:63], v[20:21]
	s_wait_loadcnt_dscnt 0x202
	v_mul_f64_e32 v[82:83], v[66:67], v[24:25]
	v_mul_f64_e32 v[20:21], v[60:61], v[20:21]
	;; [unrolled: 1-line block ×3, first 2 shown]
	s_wait_loadcnt_dscnt 0x101
	v_mul_f64_e32 v[84:85], v[70:71], v[28:29]
	v_mul_f64_e32 v[28:29], v[68:69], v[28:29]
	s_wait_loadcnt_dscnt 0x0
	v_mul_f64_e32 v[86:87], v[74:75], v[32:33]
	v_mul_f64_e32 v[32:33], v[72:73], v[32:33]
	v_fma_f64 v[38:39], v[38:39], v[2:3], v[50:51]
	v_fma_f64 v[34:35], v[34:35], v[6:7], v[0:1]
	v_fma_f64 v[36:37], v[36:37], v[6:7], -v[8:9]
	v_fma_f64 v[40:41], v[40:41], v[2:3], -v[4:5]
	ds_load_b128 v[0:3], v121
	ds_load_b128 v[4:7], v121 offset:1872
	v_fma_f64 v[42:43], v[42:43], v[14:15], v[76:77]
	v_fma_f64 v[16:17], v[44:45], v[14:15], -v[16:17]
	v_fma_f64 v[44:45], v[46:47], v[10:11], v[78:79]
	v_fma_f64 v[46:47], v[48:49], v[10:11], -v[12:13]
	v_fma_f64 v[48:49], v[60:61], v[18:19], v[80:81]
	v_fma_f64 v[50:51], v[64:65], v[22:23], v[82:83]
	v_fma_f64 v[18:19], v[62:63], v[18:19], -v[20:21]
	v_fma_f64 v[20:21], v[66:67], v[22:23], -v[24:25]
	v_fma_f64 v[22:23], v[68:69], v[26:27], v[84:85]
	v_fma_f64 v[24:25], v[70:71], v[26:27], -v[28:29]
	v_fma_f64 v[26:27], v[72:73], v[30:31], v[86:87]
	v_fma_f64 v[28:29], v[74:75], v[30:31], -v[32:33]
	ds_load_b128 v[8:11], v121 offset:3744
	ds_load_b128 v[12:15], v121 offset:5616
	global_wb scope:SCOPE_SE
	s_wait_dscnt 0x0
	s_barrier_signal -1
	s_barrier_wait -1
	global_inv scope:SCOPE_SE
	v_add_f64_e32 v[30:31], v[34:35], v[38:39]
	v_add_f64_e32 v[72:73], v[0:1], v[34:35]
	;; [unrolled: 1-line block ×3, first 2 shown]
	v_add_f64_e64 v[74:75], v[36:37], -v[40:41]
	v_add_f64_e32 v[36:37], v[2:3], v[36:37]
	v_add_f64_e64 v[34:35], v[34:35], -v[38:39]
	v_add_f64_e32 v[76:77], v[4:5], v[42:43]
	v_add_f64_e32 v[78:79], v[6:7], v[16:17]
	;; [unrolled: 1-line block ×12, first 2 shown]
	v_add_f64_e64 v[88:89], v[16:17], -v[46:47]
	v_add_f64_e64 v[42:43], v[42:43], -v[44:45]
	;; [unrolled: 1-line block ×6, first 2 shown]
	v_fma_f64 v[30:31], v[30:31], -0.5, v[0:1]
	v_add_f64_e32 v[0:1], v[72:73], v[38:39]
	v_fma_f64 v[32:33], v[32:33], -0.5, v[2:3]
	v_add_f64_e32 v[2:3], v[36:37], v[40:41]
	v_fma_f64 v[60:61], v[60:61], -0.5, v[4:5]
	v_fma_f64 v[62:63], v[62:63], -0.5, v[6:7]
	v_add_f64_e32 v[4:5], v[76:77], v[44:45]
	v_fma_f64 v[64:65], v[64:65], -0.5, v[8:9]
	v_add_f64_e32 v[6:7], v[78:79], v[46:47]
	;; [unrolled: 2-line block ×3, first 2 shown]
	v_add_f64_e32 v[10:11], v[82:83], v[20:21]
	v_fma_f64 v[68:69], v[68:69], -0.5, v[12:13]
	v_fma_f64 v[70:71], v[70:71], -0.5, v[14:15]
	v_add_f64_e32 v[12:13], v[84:85], v[26:27]
	v_add_f64_e32 v[14:15], v[86:87], v[28:29]
	v_fma_f64 v[16:17], v[74:75], s[4:5], v[30:31]
	v_fma_f64 v[20:21], v[74:75], s[10:11], v[30:31]
	;; [unrolled: 1-line block ×16, first 2 shown]
	ds_store_b128 v121, v[0:3]
	ds_store_b128 v121, v[4:7] offset:1872
	ds_store_b128 v121, v[8:11] offset:3744
	;; [unrolled: 1-line block ×11, first 2 shown]
	global_wb scope:SCOPE_SE
	s_wait_dscnt 0x0
	s_barrier_signal -1
	s_barrier_wait -1
	global_inv scope:SCOPE_SE
	s_and_saveexec_b32 s0, vcc_lo
	s_cbranch_execz .LBB0_25
; %bb.24:
	v_mul_lo_u32 v2, s3, v56
	v_mul_lo_u32 v3, s2, v57
	v_mad_co_u64_u32 v[0:1], null, s2, v56, 0
	v_lshl_add_u32 v34, v54, 4, 0
	v_dual_mov_b32 v55, v59 :: v_dual_add_nc_u32 v58, 0x75, v54
	v_lshlrev_b64_e32 v[8:9], 4, v[52:53]
	s_delay_alu instid0(VALU_DEP_4) | instskip(NEXT) | instid1(VALU_DEP_3)
	v_add3_u32 v1, v1, v3, v2
	v_lshlrev_b64_e32 v[12:13], 4, v[54:55]
	s_delay_alu instid0(VALU_DEP_2)
	v_lshlrev_b64_e32 v[10:11], 4, v[0:1]
	ds_load_b128 v[0:3], v34
	ds_load_b128 v[4:7], v34 offset:1872
	v_add_co_u32 v14, vcc_lo, s6, v10
	s_wait_alu 0xfffd
	v_add_co_ci_u32_e32 v15, vcc_lo, s7, v11, vcc_lo
	v_lshlrev_b64_e32 v[10:11], 4, v[58:59]
	s_delay_alu instid0(VALU_DEP_3) | instskip(SKIP_1) | instid1(VALU_DEP_3)
	v_add_co_u32 v36, vcc_lo, v14, v8
	s_wait_alu 0xfffd
	v_add_co_ci_u32_e32 v37, vcc_lo, v15, v9, vcc_lo
	v_add_nc_u32_e32 v58, 0xea, v54
	s_delay_alu instid0(VALU_DEP_3) | instskip(SKIP_1) | instid1(VALU_DEP_3)
	v_add_co_u32 v8, vcc_lo, v36, v12
	s_wait_alu 0xfffd
	v_add_co_ci_u32_e32 v9, vcc_lo, v37, v13, vcc_lo
	s_delay_alu instid0(VALU_DEP_3) | instskip(SKIP_4) | instid1(VALU_DEP_4)
	v_lshlrev_b64_e32 v[12:13], 4, v[58:59]
	v_add_co_u32 v10, vcc_lo, v36, v10
	s_wait_alu 0xfffd
	v_add_co_ci_u32_e32 v11, vcc_lo, v37, v11, vcc_lo
	v_add_nc_u32_e32 v58, 0x15f, v54
	v_add_co_u32 v18, vcc_lo, v36, v12
	s_wait_dscnt 0x1
	global_store_b128 v[8:9], v[0:3], off
	s_wait_dscnt 0x0
	global_store_b128 v[10:11], v[4:7], off
	s_wait_alu 0xfffd
	v_add_co_ci_u32_e32 v19, vcc_lo, v37, v13, vcc_lo
	v_lshlrev_b64_e32 v[16:17], 4, v[58:59]
	v_add_nc_u32_e32 v58, 0x1d4, v54
	ds_load_b128 v[0:3], v34 offset:3744
	ds_load_b128 v[4:7], v34 offset:5616
	;; [unrolled: 1-line block ×4, first 2 shown]
	v_lshlrev_b64_e32 v[20:21], 4, v[58:59]
	v_add_nc_u32_e32 v58, 0x249, v54
	v_add_co_u32 v16, vcc_lo, v36, v16
	s_wait_alu 0xfffd
	v_add_co_ci_u32_e32 v17, vcc_lo, v37, v17, vcc_lo
	s_delay_alu instid0(VALU_DEP_3) | instskip(SKIP_4) | instid1(VALU_DEP_3)
	v_lshlrev_b64_e32 v[22:23], 4, v[58:59]
	v_add_nc_u32_e32 v58, 0x2be, v54
	v_add_co_u32 v20, vcc_lo, v36, v20
	s_wait_alu 0xfffd
	v_add_co_ci_u32_e32 v21, vcc_lo, v37, v21, vcc_lo
	v_lshlrev_b64_e32 v[24:25], 4, v[58:59]
	v_add_nc_u32_e32 v58, 0x333, v54
	v_add_co_u32 v22, vcc_lo, v36, v22
	s_wait_alu 0xfffd
	v_add_co_ci_u32_e32 v23, vcc_lo, v37, v23, vcc_lo
	s_wait_dscnt 0x3
	global_store_b128 v[18:19], v[0:3], off
	s_wait_dscnt 0x2
	global_store_b128 v[16:17], v[4:7], off
	;; [unrolled: 2-line block ×4, first 2 shown]
	v_lshlrev_b64_e32 v[8:9], 4, v[58:59]
	v_add_nc_u32_e32 v58, 0x3a8, v54
	v_add_co_u32 v24, vcc_lo, v36, v24
	s_wait_alu 0xfffd
	v_add_co_ci_u32_e32 v25, vcc_lo, v37, v25, vcc_lo
	s_delay_alu instid0(VALU_DEP_3) | instskip(SKIP_4) | instid1(VALU_DEP_4)
	v_lshlrev_b64_e32 v[10:11], 4, v[58:59]
	v_add_co_u32 v26, vcc_lo, v36, v8
	v_add_nc_u32_e32 v58, 0x41d, v54
	s_wait_alu 0xfffd
	v_add_co_ci_u32_e32 v27, vcc_lo, v37, v9, vcc_lo
	v_add_co_u32 v30, vcc_lo, v36, v10
	ds_load_b128 v[0:3], v34 offset:11232
	ds_load_b128 v[4:7], v34 offset:13104
	s_wait_alu 0xfffd
	v_add_co_ci_u32_e32 v31, vcc_lo, v37, v11, vcc_lo
	ds_load_b128 v[8:11], v34 offset:14976
	ds_load_b128 v[12:15], v34 offset:16848
	;; [unrolled: 1-line block ×4, first 2 shown]
	v_lshlrev_b64_e32 v[28:29], 4, v[58:59]
	v_add_nc_u32_e32 v58, 0x492, v54
	s_delay_alu instid0(VALU_DEP_1) | instskip(SKIP_1) | instid1(VALU_DEP_4)
	v_lshlrev_b64_e32 v[32:33], 4, v[58:59]
	v_add_nc_u32_e32 v58, 0x507, v54
	v_add_co_u32 v28, vcc_lo, v36, v28
	s_wait_alu 0xfffd
	v_add_co_ci_u32_e32 v29, vcc_lo, v37, v29, vcc_lo
	s_delay_alu instid0(VALU_DEP_3) | instskip(SKIP_3) | instid1(VALU_DEP_3)
	v_lshlrev_b64_e32 v[34:35], 4, v[58:59]
	v_add_co_u32 v32, vcc_lo, v36, v32
	s_wait_alu 0xfffd
	v_add_co_ci_u32_e32 v33, vcc_lo, v37, v33, vcc_lo
	v_add_co_u32 v34, vcc_lo, v36, v34
	s_wait_alu 0xfffd
	v_add_co_ci_u32_e32 v35, vcc_lo, v37, v35, vcc_lo
	s_wait_dscnt 0x5
	global_store_b128 v[24:25], v[0:3], off
	s_wait_dscnt 0x4
	global_store_b128 v[26:27], v[4:7], off
	;; [unrolled: 2-line block ×6, first 2 shown]
.LBB0_25:
	s_nop 0
	s_sendmsg sendmsg(MSG_DEALLOC_VGPRS)
	s_endpgm
	.section	.rodata,"a",@progbits
	.p2align	6, 0x0
	.amdhsa_kernel fft_rtc_back_len1404_factors_2_2_3_13_3_3_wgs_117_tpt_117_halfLds_dp_op_CI_CI_unitstride_sbrr_C2R_dirReg
		.amdhsa_group_segment_fixed_size 0
		.amdhsa_private_segment_fixed_size 0
		.amdhsa_kernarg_size 104
		.amdhsa_user_sgpr_count 2
		.amdhsa_user_sgpr_dispatch_ptr 0
		.amdhsa_user_sgpr_queue_ptr 0
		.amdhsa_user_sgpr_kernarg_segment_ptr 1
		.amdhsa_user_sgpr_dispatch_id 0
		.amdhsa_user_sgpr_private_segment_size 0
		.amdhsa_wavefront_size32 1
		.amdhsa_uses_dynamic_stack 0
		.amdhsa_enable_private_segment 0
		.amdhsa_system_sgpr_workgroup_id_x 1
		.amdhsa_system_sgpr_workgroup_id_y 0
		.amdhsa_system_sgpr_workgroup_id_z 0
		.amdhsa_system_sgpr_workgroup_info 0
		.amdhsa_system_vgpr_workitem_id 0
		.amdhsa_next_free_vgpr 213
		.amdhsa_next_free_sgpr 39
		.amdhsa_reserve_vcc 1
		.amdhsa_float_round_mode_32 0
		.amdhsa_float_round_mode_16_64 0
		.amdhsa_float_denorm_mode_32 3
		.amdhsa_float_denorm_mode_16_64 3
		.amdhsa_fp16_overflow 0
		.amdhsa_workgroup_processor_mode 1
		.amdhsa_memory_ordered 1
		.amdhsa_forward_progress 0
		.amdhsa_round_robin_scheduling 0
		.amdhsa_exception_fp_ieee_invalid_op 0
		.amdhsa_exception_fp_denorm_src 0
		.amdhsa_exception_fp_ieee_div_zero 0
		.amdhsa_exception_fp_ieee_overflow 0
		.amdhsa_exception_fp_ieee_underflow 0
		.amdhsa_exception_fp_ieee_inexact 0
		.amdhsa_exception_int_div_zero 0
	.end_amdhsa_kernel
	.text
.Lfunc_end0:
	.size	fft_rtc_back_len1404_factors_2_2_3_13_3_3_wgs_117_tpt_117_halfLds_dp_op_CI_CI_unitstride_sbrr_C2R_dirReg, .Lfunc_end0-fft_rtc_back_len1404_factors_2_2_3_13_3_3_wgs_117_tpt_117_halfLds_dp_op_CI_CI_unitstride_sbrr_C2R_dirReg
                                        ; -- End function
	.section	.AMDGPU.csdata,"",@progbits
; Kernel info:
; codeLenInByte = 12376
; NumSgprs: 41
; NumVgprs: 213
; ScratchSize: 0
; MemoryBound: 0
; FloatMode: 240
; IeeeMode: 1
; LDSByteSize: 0 bytes/workgroup (compile time only)
; SGPRBlocks: 5
; VGPRBlocks: 26
; NumSGPRsForWavesPerEU: 41
; NumVGPRsForWavesPerEU: 213
; Occupancy: 7
; WaveLimiterHint : 1
; COMPUTE_PGM_RSRC2:SCRATCH_EN: 0
; COMPUTE_PGM_RSRC2:USER_SGPR: 2
; COMPUTE_PGM_RSRC2:TRAP_HANDLER: 0
; COMPUTE_PGM_RSRC2:TGID_X_EN: 1
; COMPUTE_PGM_RSRC2:TGID_Y_EN: 0
; COMPUTE_PGM_RSRC2:TGID_Z_EN: 0
; COMPUTE_PGM_RSRC2:TIDIG_COMP_CNT: 0
	.text
	.p2alignl 7, 3214868480
	.fill 96, 4, 3214868480
	.type	__hip_cuid_37a3a9ed21c666ef,@object ; @__hip_cuid_37a3a9ed21c666ef
	.section	.bss,"aw",@nobits
	.globl	__hip_cuid_37a3a9ed21c666ef
__hip_cuid_37a3a9ed21c666ef:
	.byte	0                               ; 0x0
	.size	__hip_cuid_37a3a9ed21c666ef, 1

	.ident	"AMD clang version 19.0.0git (https://github.com/RadeonOpenCompute/llvm-project roc-6.4.0 25133 c7fe45cf4b819c5991fe208aaa96edf142730f1d)"
	.section	".note.GNU-stack","",@progbits
	.addrsig
	.addrsig_sym __hip_cuid_37a3a9ed21c666ef
	.amdgpu_metadata
---
amdhsa.kernels:
  - .args:
      - .actual_access:  read_only
        .address_space:  global
        .offset:         0
        .size:           8
        .value_kind:     global_buffer
      - .offset:         8
        .size:           8
        .value_kind:     by_value
      - .actual_access:  read_only
        .address_space:  global
        .offset:         16
        .size:           8
        .value_kind:     global_buffer
      - .actual_access:  read_only
        .address_space:  global
        .offset:         24
        .size:           8
        .value_kind:     global_buffer
      - .actual_access:  read_only
        .address_space:  global
        .offset:         32
        .size:           8
        .value_kind:     global_buffer
      - .offset:         40
        .size:           8
        .value_kind:     by_value
      - .actual_access:  read_only
        .address_space:  global
        .offset:         48
        .size:           8
        .value_kind:     global_buffer
      - .actual_access:  read_only
        .address_space:  global
        .offset:         56
        .size:           8
        .value_kind:     global_buffer
      - .offset:         64
        .size:           4
        .value_kind:     by_value
      - .actual_access:  read_only
        .address_space:  global
        .offset:         72
        .size:           8
        .value_kind:     global_buffer
      - .actual_access:  read_only
        .address_space:  global
        .offset:         80
        .size:           8
        .value_kind:     global_buffer
      - .actual_access:  read_only
        .address_space:  global
        .offset:         88
        .size:           8
        .value_kind:     global_buffer
      - .actual_access:  write_only
        .address_space:  global
        .offset:         96
        .size:           8
        .value_kind:     global_buffer
    .group_segment_fixed_size: 0
    .kernarg_segment_align: 8
    .kernarg_segment_size: 104
    .language:       OpenCL C
    .language_version:
      - 2
      - 0
    .max_flat_workgroup_size: 117
    .name:           fft_rtc_back_len1404_factors_2_2_3_13_3_3_wgs_117_tpt_117_halfLds_dp_op_CI_CI_unitstride_sbrr_C2R_dirReg
    .private_segment_fixed_size: 0
    .sgpr_count:     41
    .sgpr_spill_count: 0
    .symbol:         fft_rtc_back_len1404_factors_2_2_3_13_3_3_wgs_117_tpt_117_halfLds_dp_op_CI_CI_unitstride_sbrr_C2R_dirReg.kd
    .uniform_work_group_size: 1
    .uses_dynamic_stack: false
    .vgpr_count:     213
    .vgpr_spill_count: 0
    .wavefront_size: 32
    .workgroup_processor_mode: 1
amdhsa.target:   amdgcn-amd-amdhsa--gfx1201
amdhsa.version:
  - 1
  - 2
...

	.end_amdgpu_metadata
